;; amdgpu-corpus repo=ROCm/rocFFT kind=compiled arch=gfx1100 opt=O3
	.text
	.amdgcn_target "amdgcn-amd-amdhsa--gfx1100"
	.amdhsa_code_object_version 6
	.protected	fft_rtc_back_len4000_factors_10_10_10_4_wgs_200_tpt_200_halfLds_half_op_CI_CI_sbrr_dirReg ; -- Begin function fft_rtc_back_len4000_factors_10_10_10_4_wgs_200_tpt_200_halfLds_half_op_CI_CI_sbrr_dirReg
	.globl	fft_rtc_back_len4000_factors_10_10_10_4_wgs_200_tpt_200_halfLds_half_op_CI_CI_sbrr_dirReg
	.p2align	8
	.type	fft_rtc_back_len4000_factors_10_10_10_4_wgs_200_tpt_200_halfLds_half_op_CI_CI_sbrr_dirReg,@function
fft_rtc_back_len4000_factors_10_10_10_4_wgs_200_tpt_200_halfLds_half_op_CI_CI_sbrr_dirReg: ; @fft_rtc_back_len4000_factors_10_10_10_4_wgs_200_tpt_200_halfLds_half_op_CI_CI_sbrr_dirReg
; %bb.0:
	s_clause 0x2
	s_load_b128 s[16:19], s[0:1], 0x18
	s_load_b128 s[8:11], s[0:1], 0x0
	;; [unrolled: 1-line block ×3, first 2 shown]
	v_mul_u32_u24_e32 v1, 0x148, v0
	v_mov_b32_e32 v7, 0
	v_mov_b32_e32 v5, 0
	;; [unrolled: 1-line block ×3, first 2 shown]
	s_waitcnt lgkmcnt(0)
	s_load_b64 s[20:21], s[16:17], 0x0
	s_load_b64 s[12:13], s[18:19], 0x0
	v_lshrrev_b32_e32 v1, 16, v1
	v_cmp_lt_u64_e64 s2, s[10:11], 2
	s_delay_alu instid0(VALU_DEP_2) | instskip(NEXT) | instid1(VALU_DEP_2)
	v_dual_mov_b32 v10, v7 :: v_dual_add_nc_u32 v9, s15, v1
	s_and_b32 vcc_lo, exec_lo, s2
	s_cbranch_vccnz .LBB0_8
; %bb.1:
	s_load_b64 s[2:3], s[0:1], 0x10
	v_mov_b32_e32 v5, 0
	v_mov_b32_e32 v6, 0
	s_add_u32 s14, s18, 8
	s_addc_u32 s15, s19, 0
	s_add_u32 s22, s16, 8
	s_delay_alu instid0(VALU_DEP_1)
	v_dual_mov_b32 v1, v5 :: v_dual_mov_b32 v2, v6
	s_addc_u32 s23, s17, 0
	s_mov_b64 s[26:27], 1
	s_waitcnt lgkmcnt(0)
	s_add_u32 s24, s2, 8
	s_addc_u32 s25, s3, 0
.LBB0_2:                                ; =>This Inner Loop Header: Depth=1
	s_load_b64 s[28:29], s[24:25], 0x0
                                        ; implicit-def: $vgpr3_vgpr4
	s_mov_b32 s2, exec_lo
	s_waitcnt lgkmcnt(0)
	v_or_b32_e32 v8, s29, v10
	s_delay_alu instid0(VALU_DEP_1)
	v_cmpx_ne_u64_e32 0, v[7:8]
	s_xor_b32 s3, exec_lo, s2
	s_cbranch_execz .LBB0_4
; %bb.3:                                ;   in Loop: Header=BB0_2 Depth=1
	v_cvt_f32_u32_e32 v3, s28
	v_cvt_f32_u32_e32 v4, s29
	s_sub_u32 s2, 0, s28
	s_subb_u32 s30, 0, s29
	s_delay_alu instid0(VALU_DEP_1) | instskip(NEXT) | instid1(VALU_DEP_1)
	v_fmac_f32_e32 v3, 0x4f800000, v4
	v_rcp_f32_e32 v3, v3
	s_waitcnt_depctr 0xfff
	v_mul_f32_e32 v3, 0x5f7ffffc, v3
	s_delay_alu instid0(VALU_DEP_1) | instskip(NEXT) | instid1(VALU_DEP_1)
	v_mul_f32_e32 v4, 0x2f800000, v3
	v_trunc_f32_e32 v4, v4
	s_delay_alu instid0(VALU_DEP_1) | instskip(SKIP_1) | instid1(VALU_DEP_2)
	v_fmac_f32_e32 v3, 0xcf800000, v4
	v_cvt_u32_f32_e32 v4, v4
	v_cvt_u32_f32_e32 v3, v3
	s_delay_alu instid0(VALU_DEP_2) | instskip(NEXT) | instid1(VALU_DEP_2)
	v_mul_lo_u32 v8, s2, v4
	v_mul_hi_u32 v11, s2, v3
	v_mul_lo_u32 v12, s30, v3
	s_delay_alu instid0(VALU_DEP_2) | instskip(SKIP_1) | instid1(VALU_DEP_2)
	v_add_nc_u32_e32 v8, v11, v8
	v_mul_lo_u32 v11, s2, v3
	v_add_nc_u32_e32 v8, v8, v12
	s_delay_alu instid0(VALU_DEP_2) | instskip(NEXT) | instid1(VALU_DEP_2)
	v_mul_hi_u32 v12, v3, v11
	v_mul_lo_u32 v13, v3, v8
	v_mul_hi_u32 v14, v3, v8
	v_mul_hi_u32 v15, v4, v11
	v_mul_lo_u32 v11, v4, v11
	v_mul_hi_u32 v16, v4, v8
	v_mul_lo_u32 v8, v4, v8
	v_add_co_u32 v12, vcc_lo, v12, v13
	v_add_co_ci_u32_e32 v13, vcc_lo, 0, v14, vcc_lo
	s_delay_alu instid0(VALU_DEP_2) | instskip(NEXT) | instid1(VALU_DEP_2)
	v_add_co_u32 v11, vcc_lo, v12, v11
	v_add_co_ci_u32_e32 v11, vcc_lo, v13, v15, vcc_lo
	v_add_co_ci_u32_e32 v12, vcc_lo, 0, v16, vcc_lo
	s_delay_alu instid0(VALU_DEP_2) | instskip(NEXT) | instid1(VALU_DEP_2)
	v_add_co_u32 v8, vcc_lo, v11, v8
	v_add_co_ci_u32_e32 v11, vcc_lo, 0, v12, vcc_lo
	s_delay_alu instid0(VALU_DEP_2) | instskip(NEXT) | instid1(VALU_DEP_2)
	v_add_co_u32 v3, vcc_lo, v3, v8
	v_add_co_ci_u32_e32 v4, vcc_lo, v4, v11, vcc_lo
	s_delay_alu instid0(VALU_DEP_2) | instskip(SKIP_1) | instid1(VALU_DEP_3)
	v_mul_hi_u32 v8, s2, v3
	v_mul_lo_u32 v12, s30, v3
	v_mul_lo_u32 v11, s2, v4
	s_delay_alu instid0(VALU_DEP_1) | instskip(SKIP_1) | instid1(VALU_DEP_2)
	v_add_nc_u32_e32 v8, v8, v11
	v_mul_lo_u32 v11, s2, v3
	v_add_nc_u32_e32 v8, v8, v12
	s_delay_alu instid0(VALU_DEP_2) | instskip(NEXT) | instid1(VALU_DEP_2)
	v_mul_hi_u32 v12, v3, v11
	v_mul_lo_u32 v13, v3, v8
	v_mul_hi_u32 v14, v3, v8
	v_mul_hi_u32 v15, v4, v11
	v_mul_lo_u32 v11, v4, v11
	v_mul_hi_u32 v16, v4, v8
	v_mul_lo_u32 v8, v4, v8
	v_add_co_u32 v12, vcc_lo, v12, v13
	v_add_co_ci_u32_e32 v13, vcc_lo, 0, v14, vcc_lo
	s_delay_alu instid0(VALU_DEP_2) | instskip(NEXT) | instid1(VALU_DEP_2)
	v_add_co_u32 v11, vcc_lo, v12, v11
	v_add_co_ci_u32_e32 v11, vcc_lo, v13, v15, vcc_lo
	v_add_co_ci_u32_e32 v12, vcc_lo, 0, v16, vcc_lo
	s_delay_alu instid0(VALU_DEP_2) | instskip(NEXT) | instid1(VALU_DEP_2)
	v_add_co_u32 v8, vcc_lo, v11, v8
	v_add_co_ci_u32_e32 v11, vcc_lo, 0, v12, vcc_lo
	s_delay_alu instid0(VALU_DEP_2) | instskip(NEXT) | instid1(VALU_DEP_2)
	v_add_co_u32 v8, vcc_lo, v3, v8
	v_add_co_ci_u32_e32 v15, vcc_lo, v4, v11, vcc_lo
	s_delay_alu instid0(VALU_DEP_2) | instskip(SKIP_1) | instid1(VALU_DEP_3)
	v_mul_hi_u32 v16, v9, v8
	v_mad_u64_u32 v[11:12], null, v10, v8, 0
	v_mad_u64_u32 v[3:4], null, v9, v15, 0
	;; [unrolled: 1-line block ×3, first 2 shown]
	s_delay_alu instid0(VALU_DEP_2) | instskip(NEXT) | instid1(VALU_DEP_3)
	v_add_co_u32 v3, vcc_lo, v16, v3
	v_add_co_ci_u32_e32 v4, vcc_lo, 0, v4, vcc_lo
	s_delay_alu instid0(VALU_DEP_2) | instskip(NEXT) | instid1(VALU_DEP_2)
	v_add_co_u32 v3, vcc_lo, v3, v11
	v_add_co_ci_u32_e32 v3, vcc_lo, v4, v12, vcc_lo
	v_add_co_ci_u32_e32 v4, vcc_lo, 0, v14, vcc_lo
	s_delay_alu instid0(VALU_DEP_2) | instskip(NEXT) | instid1(VALU_DEP_2)
	v_add_co_u32 v8, vcc_lo, v3, v13
	v_add_co_ci_u32_e32 v11, vcc_lo, 0, v4, vcc_lo
	s_delay_alu instid0(VALU_DEP_2) | instskip(SKIP_1) | instid1(VALU_DEP_3)
	v_mul_lo_u32 v12, s29, v8
	v_mad_u64_u32 v[3:4], null, s28, v8, 0
	v_mul_lo_u32 v13, s28, v11
	s_delay_alu instid0(VALU_DEP_2) | instskip(NEXT) | instid1(VALU_DEP_2)
	v_sub_co_u32 v3, vcc_lo, v9, v3
	v_add3_u32 v4, v4, v13, v12
	s_delay_alu instid0(VALU_DEP_1) | instskip(NEXT) | instid1(VALU_DEP_1)
	v_sub_nc_u32_e32 v12, v10, v4
	v_subrev_co_ci_u32_e64 v12, s2, s29, v12, vcc_lo
	v_add_co_u32 v13, s2, v8, 2
	s_delay_alu instid0(VALU_DEP_1) | instskip(SKIP_3) | instid1(VALU_DEP_3)
	v_add_co_ci_u32_e64 v14, s2, 0, v11, s2
	v_sub_co_u32 v15, s2, v3, s28
	v_sub_co_ci_u32_e32 v4, vcc_lo, v10, v4, vcc_lo
	v_subrev_co_ci_u32_e64 v12, s2, 0, v12, s2
	v_cmp_le_u32_e32 vcc_lo, s28, v15
	s_delay_alu instid0(VALU_DEP_3) | instskip(SKIP_1) | instid1(VALU_DEP_4)
	v_cmp_eq_u32_e64 s2, s29, v4
	v_cndmask_b32_e64 v15, 0, -1, vcc_lo
	v_cmp_le_u32_e32 vcc_lo, s29, v12
	v_cndmask_b32_e64 v16, 0, -1, vcc_lo
	v_cmp_le_u32_e32 vcc_lo, s28, v3
	;; [unrolled: 2-line block ×3, first 2 shown]
	v_cndmask_b32_e64 v17, 0, -1, vcc_lo
	v_cmp_eq_u32_e32 vcc_lo, s29, v12
	s_delay_alu instid0(VALU_DEP_2) | instskip(SKIP_3) | instid1(VALU_DEP_3)
	v_cndmask_b32_e64 v3, v17, v3, s2
	v_cndmask_b32_e32 v12, v16, v15, vcc_lo
	v_add_co_u32 v15, vcc_lo, v8, 1
	v_add_co_ci_u32_e32 v16, vcc_lo, 0, v11, vcc_lo
	v_cmp_ne_u32_e32 vcc_lo, 0, v12
	s_delay_alu instid0(VALU_DEP_2) | instskip(NEXT) | instid1(VALU_DEP_4)
	v_cndmask_b32_e32 v4, v16, v14, vcc_lo
	v_cndmask_b32_e32 v12, v15, v13, vcc_lo
	v_cmp_ne_u32_e32 vcc_lo, 0, v3
	s_delay_alu instid0(VALU_DEP_3) | instskip(NEXT) | instid1(VALU_DEP_3)
	v_cndmask_b32_e32 v4, v11, v4, vcc_lo
	v_cndmask_b32_e32 v3, v8, v12, vcc_lo
.LBB0_4:                                ;   in Loop: Header=BB0_2 Depth=1
	s_and_not1_saveexec_b32 s2, s3
	s_cbranch_execz .LBB0_6
; %bb.5:                                ;   in Loop: Header=BB0_2 Depth=1
	v_cvt_f32_u32_e32 v3, s28
	s_sub_i32 s3, 0, s28
	s_delay_alu instid0(VALU_DEP_1) | instskip(SKIP_2) | instid1(VALU_DEP_1)
	v_rcp_iflag_f32_e32 v3, v3
	s_waitcnt_depctr 0xfff
	v_mul_f32_e32 v3, 0x4f7ffffe, v3
	v_cvt_u32_f32_e32 v3, v3
	s_delay_alu instid0(VALU_DEP_1) | instskip(NEXT) | instid1(VALU_DEP_1)
	v_mul_lo_u32 v4, s3, v3
	v_mul_hi_u32 v4, v3, v4
	s_delay_alu instid0(VALU_DEP_1) | instskip(NEXT) | instid1(VALU_DEP_1)
	v_add_nc_u32_e32 v3, v3, v4
	v_mul_hi_u32 v3, v9, v3
	s_delay_alu instid0(VALU_DEP_1) | instskip(SKIP_1) | instid1(VALU_DEP_2)
	v_mul_lo_u32 v4, v3, s28
	v_add_nc_u32_e32 v8, 1, v3
	v_sub_nc_u32_e32 v4, v9, v4
	s_delay_alu instid0(VALU_DEP_1) | instskip(SKIP_1) | instid1(VALU_DEP_2)
	v_subrev_nc_u32_e32 v11, s28, v4
	v_cmp_le_u32_e32 vcc_lo, s28, v4
	v_dual_cndmask_b32 v4, v4, v11 :: v_dual_cndmask_b32 v3, v3, v8
	s_delay_alu instid0(VALU_DEP_1) | instskip(NEXT) | instid1(VALU_DEP_2)
	v_cmp_le_u32_e32 vcc_lo, s28, v4
	v_add_nc_u32_e32 v8, 1, v3
	v_mov_b32_e32 v4, v7
	s_delay_alu instid0(VALU_DEP_2)
	v_cndmask_b32_e32 v3, v3, v8, vcc_lo
.LBB0_6:                                ;   in Loop: Header=BB0_2 Depth=1
	s_or_b32 exec_lo, exec_lo, s2
	s_delay_alu instid0(VALU_DEP_2) | instskip(NEXT) | instid1(VALU_DEP_2)
	v_mul_lo_u32 v8, v4, s28
	v_mul_lo_u32 v13, v3, s29
	s_load_b64 s[2:3], s[22:23], 0x0
	v_mad_u64_u32 v[11:12], null, v3, s28, 0
	s_load_b64 s[28:29], s[14:15], 0x0
	s_add_u32 s26, s26, 1
	s_addc_u32 s27, s27, 0
	s_add_u32 s14, s14, 8
	s_addc_u32 s15, s15, 0
	s_add_u32 s22, s22, 8
	s_delay_alu instid0(VALU_DEP_1) | instskip(SKIP_3) | instid1(VALU_DEP_2)
	v_add3_u32 v8, v12, v13, v8
	v_sub_co_u32 v12, vcc_lo, v9, v11
	s_addc_u32 s23, s23, 0
	s_add_u32 s24, s24, 8
	v_sub_co_ci_u32_e32 v10, vcc_lo, v10, v8, vcc_lo
	s_addc_u32 s25, s25, 0
	s_waitcnt lgkmcnt(0)
	s_delay_alu instid0(VALU_DEP_1)
	v_mul_lo_u32 v13, s2, v10
	v_mul_lo_u32 v14, s3, v12
	v_mad_u64_u32 v[8:9], null, s2, v12, v[5:6]
	v_mul_lo_u32 v15, s28, v10
	v_mul_lo_u32 v16, s29, v12
	v_mad_u64_u32 v[10:11], null, s28, v12, v[1:2]
	v_cmp_ge_u64_e64 s2, s[26:27], s[10:11]
	v_add3_u32 v6, v14, v9, v13
	v_mov_b32_e32 v5, v8
	s_delay_alu instid0(VALU_DEP_4)
	v_add3_u32 v2, v16, v11, v15
	v_mov_b32_e32 v1, v10
	s_and_b32 vcc_lo, exec_lo, s2
	s_cbranch_vccnz .LBB0_9
; %bb.7:                                ;   in Loop: Header=BB0_2 Depth=1
	v_dual_mov_b32 v10, v4 :: v_dual_mov_b32 v9, v3
	s_branch .LBB0_2
.LBB0_8:
	v_dual_mov_b32 v1, v5 :: v_dual_mov_b32 v2, v6
	s_delay_alu instid0(VALU_DEP_2)
	v_dual_mov_b32 v3, v9 :: v_dual_mov_b32 v4, v10
.LBB0_9:
	s_load_b64 s[0:1], s[0:1], 0x28
	v_mul_hi_u32 v52, 0x147ae15, v0
	s_lshl_b64 s[10:11], s[10:11], 3
                                        ; implicit-def: $vgpr7
                                        ; implicit-def: $vgpr10
                                        ; implicit-def: $vgpr8
                                        ; implicit-def: $vgpr9
                                        ; implicit-def: $vgpr11
	s_delay_alu instid0(SALU_CYCLE_1) | instskip(SKIP_4) | instid1(VALU_DEP_1)
	s_add_u32 s2, s18, s10
	s_addc_u32 s3, s19, s11
	s_waitcnt lgkmcnt(0)
	v_cmp_gt_u64_e32 vcc_lo, s[0:1], v[3:4]
	v_cmp_le_u64_e64 s0, s[0:1], v[3:4]
	s_and_saveexec_b32 s1, s0
	s_delay_alu instid0(SALU_CYCLE_1)
	s_xor_b32 s0, exec_lo, s1
; %bb.10:
	v_mul_u32_u24_e32 v5, 0xc8, v52
                                        ; implicit-def: $vgpr52
	s_delay_alu instid0(VALU_DEP_1) | instskip(NEXT) | instid1(VALU_DEP_1)
	v_sub_nc_u32_e32 v7, v0, v5
                                        ; implicit-def: $vgpr0
                                        ; implicit-def: $vgpr5_vgpr6
	v_add_nc_u32_e32 v10, 0xc8, v7
	v_add_nc_u32_e32 v8, 0x190, v7
	;; [unrolled: 1-line block ×4, first 2 shown]
; %bb.11:
	s_or_saveexec_b32 s1, s0
                                        ; implicit-def: $vgpr37
                                        ; implicit-def: $vgpr16
                                        ; implicit-def: $vgpr41
                                        ; implicit-def: $vgpr17
                                        ; implicit-def: $vgpr47
                                        ; implicit-def: $vgpr40
                                        ; implicit-def: $vgpr45
                                        ; implicit-def: $vgpr26
                                        ; implicit-def: $vgpr48
                                        ; implicit-def: $vgpr38
                                        ; implicit-def: $vgpr43
                                        ; implicit-def: $vgpr27
                                        ; implicit-def: $vgpr49
                                        ; implicit-def: $vgpr39
                                        ; implicit-def: $vgpr44
                                        ; implicit-def: $vgpr28
                                        ; implicit-def: $vgpr50
                                        ; implicit-def: $vgpr51
                                        ; implicit-def: $vgpr42
                                        ; implicit-def: $vgpr46
                                        ; implicit-def: $vgpr13
                                        ; implicit-def: $vgpr12
                                        ; implicit-def: $vgpr15
                                        ; implicit-def: $vgpr14
                                        ; implicit-def: $vgpr30
                                        ; implicit-def: $vgpr34
                                        ; implicit-def: $vgpr23
                                        ; implicit-def: $vgpr19
                                        ; implicit-def: $vgpr32
                                        ; implicit-def: $vgpr29
                                        ; implicit-def: $vgpr20
                                        ; implicit-def: $vgpr22
                                        ; implicit-def: $vgpr33
                                        ; implicit-def: $vgpr31
                                        ; implicit-def: $vgpr21
                                        ; implicit-def: $vgpr24
                                        ; implicit-def: $vgpr35
                                        ; implicit-def: $vgpr36
                                        ; implicit-def: $vgpr18
                                        ; implicit-def: $vgpr25
	s_delay_alu instid0(SALU_CYCLE_1)
	s_xor_b32 exec_lo, exec_lo, s1
	s_cbranch_execz .LBB0_13
; %bb.12:
	s_add_u32 s10, s16, s10
	s_addc_u32 s11, s17, s11
	v_mul_u32_u24_e32 v7, 0xc8, v52
	s_load_b64 s[10:11], s[10:11], 0x0
	v_lshlrev_b64 v[5:6], 2, v[5:6]
	s_delay_alu instid0(VALU_DEP_2) | instskip(NEXT) | instid1(VALU_DEP_1)
	v_sub_nc_u32_e32 v7, v0, v7
	v_mad_u64_u32 v[10:11], null, s20, v7, 0
	v_add_nc_u32_e32 v9, 0x320, v7
	v_add_nc_u32_e32 v44, 0xbb8, v7
	;; [unrolled: 1-line block ×3, first 2 shown]
	s_delay_alu instid0(VALU_DEP_4) | instskip(NEXT) | instid1(VALU_DEP_4)
	v_dual_mov_b32 v0, v11 :: v_dual_add_nc_u32 v51, 0xed8, v7
	v_mad_u64_u32 v[14:15], null, s20, v9, 0
	v_add_nc_u32_e32 v8, 0x190, v7
	s_waitcnt lgkmcnt(0)
	v_mul_lo_u32 v11, s11, v3
	v_mul_lo_u32 v21, s10, v4
	v_mad_u64_u32 v[16:17], null, s10, v3, 0
	v_mad_u64_u32 v[12:13], null, s20, v8, 0
	v_mad_u64_u32 v[18:19], null, s21, v7, v[0:1]
	v_add_nc_u32_e32 v24, 0x4b0, v7
	v_add_nc_u32_e32 v25, 0x640, v7
	v_add3_u32 v17, v17, v21, v11
	v_dual_mov_b32 v0, v13 :: v_dual_mov_b32 v13, v15
	v_mov_b32_e32 v11, v18
	s_delay_alu instid0(VALU_DEP_3) | instskip(SKIP_1) | instid1(VALU_DEP_4)
	v_lshlrev_b64 v[15:16], 2, v[16:17]
	v_mad_u64_u32 v[19:20], null, s20, v24, 0
	v_mad_u64_u32 v[21:22], null, s21, v8, v[0:1]
	;; [unrolled: 1-line block ×3, first 2 shown]
	s_delay_alu instid0(VALU_DEP_4) | instskip(NEXT) | instid1(VALU_DEP_1)
	v_add_co_u32 v18, s0, s4, v15
	v_add_co_ci_u32_e64 v16, s0, s5, v16, s0
	v_lshlrev_b64 v[10:11], 2, v[10:11]
	v_dual_mov_b32 v0, v20 :: v_dual_mov_b32 v13, v21
	s_delay_alu instid0(VALU_DEP_4) | instskip(NEXT) | instid1(VALU_DEP_1)
	v_add_co_u32 v45, s0, v18, v5
	v_add_co_ci_u32_e64 v46, s0, v16, v6, s0
	v_mad_u64_u32 v[22:23], null, s20, v25, 0
	s_delay_alu instid0(VALU_DEP_4) | instskip(NEXT) | instid1(VALU_DEP_4)
	v_lshlrev_b64 v[5:6], 2, v[12:13]
	v_add_co_u32 v12, s0, v45, v10
	s_delay_alu instid0(VALU_DEP_1) | instskip(SKIP_4) | instid1(VALU_DEP_1)
	v_add_co_ci_u32_e64 v13, s0, v46, v11, s0
	v_mad_u64_u32 v[10:11], null, s21, v24, v[0:1]
	v_add_nc_u32_e32 v21, 0x7d0, v7
	v_dual_mov_b32 v15, v17 :: v_dual_mov_b32 v0, v23
	v_add_co_u32 v5, s0, v45, v5
	v_add_co_ci_u32_e64 v6, s0, v46, v6, s0
	v_mov_b32_e32 v20, v10
	v_mad_u64_u32 v[10:11], null, s20, v21, 0
	v_mad_u64_u32 v[16:17], null, s21, v25, v[0:1]
	v_add_nc_u32_e32 v27, 0x960, v7
	v_lshlrev_b64 v[14:15], 2, v[14:15]
	v_lshlrev_b64 v[17:18], 2, v[19:20]
	v_mov_b32_e32 v0, v11
	s_delay_alu instid0(VALU_DEP_4) | instskip(SKIP_3) | instid1(VALU_DEP_1)
	v_mad_u64_u32 v[19:20], null, s20, v27, 0
	v_mov_b32_e32 v23, v16
	v_add_nc_u32_e32 v29, 0xaf0, v7
	v_add_co_u32 v14, s0, v45, v14
	v_add_co_ci_u32_e64 v15, s0, v46, v15, s0
	v_mad_u64_u32 v[24:25], null, s21, v21, v[0:1]
	v_mov_b32_e32 v0, v20
	v_add_co_u32 v25, s0, v45, v17
	v_lshlrev_b64 v[16:17], 2, v[22:23]
	v_mad_u64_u32 v[21:22], null, s20, v29, 0
	v_mov_b32_e32 v11, v24
	v_mad_u64_u32 v[23:24], null, s21, v27, v[0:1]
	v_add_co_ci_u32_e64 v26, s0, v46, v18, s0
	v_add_co_u32 v27, s0, v45, v16
	v_mov_b32_e32 v0, v22
	v_add_co_ci_u32_e64 v28, s0, v46, v17, s0
	v_mov_b32_e32 v20, v23
	v_lshlrev_b64 v[10:11], 2, v[10:11]
	s_delay_alu instid0(VALU_DEP_4) | instskip(SKIP_1) | instid1(VALU_DEP_3)
	v_mad_u64_u32 v[16:17], null, s21, v29, v[0:1]
	v_add_nc_u32_e32 v31, 0xc80, v7
	v_add_co_u32 v29, s0, v45, v10
	s_delay_alu instid0(VALU_DEP_1) | instskip(NEXT) | instid1(VALU_DEP_4)
	v_add_co_ci_u32_e64 v30, s0, v46, v11, s0
	v_mov_b32_e32 v22, v16
	s_delay_alu instid0(VALU_DEP_4) | instskip(SKIP_2) | instid1(VALU_DEP_4)
	v_mad_u64_u32 v[23:24], null, s20, v31, 0
	v_add_nc_u32_e32 v33, 0xe10, v7
	v_lshlrev_b64 v[10:11], 2, v[19:20]
	v_lshlrev_b64 v[16:17], 2, v[21:22]
	s_delay_alu instid0(VALU_DEP_4) | instskip(NEXT) | instid1(VALU_DEP_4)
	v_mov_b32_e32 v0, v24
	v_mad_u64_u32 v[18:19], null, s20, v33, 0
	s_delay_alu instid0(VALU_DEP_2) | instskip(SKIP_1) | instid1(VALU_DEP_3)
	v_mad_u64_u32 v[20:21], null, s21, v31, v[0:1]
	v_add_co_u32 v21, s0, v45, v10
	v_mov_b32_e32 v0, v19
	v_add_nc_u32_e32 v10, 0xc8, v7
	v_add_co_ci_u32_e64 v22, s0, v46, v11, s0
	v_dual_mov_b32 v24, v20 :: v_dual_add_nc_u32 v11, 0x258, v7
	s_delay_alu instid0(VALU_DEP_4) | instskip(NEXT) | instid1(VALU_DEP_4)
	v_mad_u64_u32 v[19:20], null, s21, v33, v[0:1]
	v_mad_u64_u32 v[33:34], null, s20, v10, 0
	v_add_co_u32 v31, s0, v45, v16
	s_delay_alu instid0(VALU_DEP_1)
	v_add_co_ci_u32_e64 v32, s0, v46, v17, s0
	s_clause 0x7
	global_load_b32 v16, v[12:13], off
	global_load_b32 v17, v[5:6], off
	;; [unrolled: 1-line block ×8, first 2 shown]
	v_dual_mov_b32 v0, v34 :: v_dual_add_nc_u32 v25, 0x3e8, v7
	v_mad_u64_u32 v[12:13], null, s20, v11, 0
	v_add_nc_u32_e32 v32, 0x578, v7
	v_lshlrev_b64 v[5:6], 2, v[23:24]
	s_delay_alu instid0(VALU_DEP_4) | instskip(SKIP_1) | instid1(VALU_DEP_4)
	v_mad_u64_u32 v[14:15], null, s21, v10, v[0:1]
	v_lshlrev_b64 v[18:19], 2, v[18:19]
	v_mad_u64_u32 v[23:24], null, s20, v32, 0
	v_mov_b32_e32 v0, v13
	v_add_co_u32 v5, s0, v45, v5
	v_mov_b32_e32 v34, v14
	v_mad_u64_u32 v[14:15], null, s20, v25, 0
	s_delay_alu instid0(VALU_DEP_4) | instskip(NEXT) | instid1(VALU_DEP_3)
	v_mad_u64_u32 v[20:21], null, s21, v11, v[0:1]
	v_lshlrev_b64 v[21:22], 2, v[33:34]
	v_add_nc_u32_e32 v34, 0x708, v7
	v_add_co_ci_u32_e64 v6, s0, v46, v6, s0
	v_mov_b32_e32 v0, v15
	v_add_co_u32 v18, s0, v45, v18
	v_mov_b32_e32 v13, v20
	v_add_co_ci_u32_e64 v19, s0, v46, v19, s0
	s_delay_alu instid0(VALU_DEP_4)
	v_mad_u64_u32 v[29:30], null, s21, v25, v[0:1]
	v_mad_u64_u32 v[30:31], null, s20, v34, 0
	v_mov_b32_e32 v0, v24
	v_lshlrev_b64 v[12:13], 2, v[12:13]
	v_add_co_u32 v20, s0, v45, v21
	v_mov_b32_e32 v15, v29
	s_delay_alu instid0(VALU_DEP_4) | instskip(SKIP_3) | instid1(VALU_DEP_1)
	v_mad_u64_u32 v[24:25], null, s21, v32, v[0:1]
	v_dual_mov_b32 v0, v31 :: v_dual_add_nc_u32 v25, 0x898, v7
	v_add_co_ci_u32_e64 v21, s0, v46, v22, s0
	v_add_co_u32 v32, s0, v45, v12
	v_add_co_ci_u32_e64 v33, s0, v46, v13, s0
	v_lshlrev_b64 v[12:13], 2, v[14:15]
	v_mad_u64_u32 v[14:15], null, s21, v34, v[0:1]
	v_mad_u64_u32 v[34:35], null, s20, v25, 0
	s_delay_alu instid0(VALU_DEP_3) | instskip(NEXT) | instid1(VALU_DEP_1)
	v_add_co_u32 v36, s0, v45, v12
	v_add_co_ci_u32_e64 v37, s0, v46, v13, s0
	s_delay_alu instid0(VALU_DEP_3) | instskip(SKIP_2) | instid1(VALU_DEP_3)
	v_dual_mov_b32 v31, v14 :: v_dual_mov_b32 v0, v35
	v_mad_u64_u32 v[14:15], null, s20, v43, 0
	v_lshlrev_b64 v[12:13], 2, v[23:24]
	v_mad_u64_u32 v[22:23], null, s21, v25, v[0:1]
	v_mad_u64_u32 v[23:24], null, s20, v44, 0
	s_delay_alu instid0(VALU_DEP_4) | instskip(NEXT) | instid1(VALU_DEP_4)
	v_mov_b32_e32 v0, v15
	v_add_co_u32 v41, s0, v45, v12
	s_delay_alu instid0(VALU_DEP_1) | instskip(SKIP_4) | instid1(VALU_DEP_4)
	v_add_co_ci_u32_e64 v42, s0, v46, v13, s0
	v_dual_mov_b32 v35, v22 :: v_dual_add_nc_u32 v22, 0xd48, v7
	v_lshlrev_b64 v[12:13], 2, v[30:31]
	v_mad_u64_u32 v[29:30], null, s21, v43, v[0:1]
	v_mov_b32_e32 v0, v24
	v_mad_u64_u32 v[30:31], null, s20, v22, 0
	s_delay_alu instid0(VALU_DEP_4) | instskip(NEXT) | instid1(VALU_DEP_3)
	v_add_co_u32 v47, s0, v45, v12
	v_mad_u64_u32 v[24:25], null, s21, v44, v[0:1]
	v_mad_u64_u32 v[43:44], null, s20, v51, 0
	s_delay_alu instid0(VALU_DEP_4) | instskip(SKIP_3) | instid1(VALU_DEP_4)
	v_mov_b32_e32 v0, v31
	v_add_co_ci_u32_e64 v48, s0, v46, v13, s0
	v_lshlrev_b64 v[12:13], 2, v[34:35]
	v_mov_b32_e32 v15, v29
	v_mad_u64_u32 v[34:35], null, s21, v22, v[0:1]
	v_mov_b32_e32 v0, v44
	v_lshlrev_b64 v[22:23], 2, v[23:24]
	v_add_co_u32 v49, s0, v45, v12
	s_delay_alu instid0(VALU_DEP_1) | instskip(SKIP_3) | instid1(VALU_DEP_2)
	v_add_co_ci_u32_e64 v50, s0, v46, v13, s0
	v_mov_b32_e32 v31, v34
	v_lshlrev_b64 v[12:13], 2, v[14:15]
	v_mad_u64_u32 v[14:15], null, s21, v51, v[0:1]
	v_add_co_u32 v24, s0, v45, v12
	s_delay_alu instid0(VALU_DEP_1) | instskip(NEXT) | instid1(VALU_DEP_3)
	v_add_co_ci_u32_e64 v25, s0, v46, v13, s0
	v_mov_b32_e32 v44, v14
	v_lshlrev_b64 v[12:13], 2, v[30:31]
	v_add_co_u32 v52, s0, v45, v22
	s_delay_alu instid0(VALU_DEP_1) | instskip(NEXT) | instid1(VALU_DEP_4)
	v_add_co_ci_u32_e64 v53, s0, v46, v23, s0
	v_lshlrev_b64 v[14:15], 2, v[43:44]
	s_delay_alu instid0(VALU_DEP_4) | instskip(NEXT) | instid1(VALU_DEP_1)
	v_add_co_u32 v43, s0, v45, v12
	v_add_co_ci_u32_e64 v44, s0, v46, v13, s0
	s_delay_alu instid0(VALU_DEP_3) | instskip(NEXT) | instid1(VALU_DEP_1)
	v_add_co_u32 v54, s0, v45, v14
	v_add_co_ci_u32_e64 v55, s0, v46, v15, s0
	s_clause 0xb
	global_load_b32 v51, v[5:6], off
	global_load_b32 v46, v[18:19], off
	;; [unrolled: 1-line block ×12, first 2 shown]
	s_waitcnt vmcnt(19)
	v_lshrrev_b32_e32 v37, 16, v16
	s_waitcnt vmcnt(18)
	v_lshrrev_b32_e32 v41, 16, v17
	s_waitcnt vmcnt(17)
	v_lshrrev_b32_e32 v47, 16, v40
	s_waitcnt vmcnt(16)
	v_lshrrev_b32_e32 v45, 16, v26
	s_waitcnt vmcnt(15)
	v_lshrrev_b32_e32 v48, 16, v38
	s_waitcnt vmcnt(14)
	v_lshrrev_b32_e32 v43, 16, v27
	s_waitcnt vmcnt(13)
	v_lshrrev_b32_e32 v49, 16, v39
	s_waitcnt vmcnt(12)
	v_lshrrev_b32_e32 v44, 16, v28
	s_waitcnt vmcnt(11)
	v_lshrrev_b32_e32 v50, 16, v51
	s_waitcnt vmcnt(10)
	v_lshrrev_b32_e32 v42, 16, v46
	s_waitcnt vmcnt(9)
	v_lshrrev_b32_e32 v13, 16, v12
	s_waitcnt vmcnt(8)
	v_lshrrev_b32_e32 v15, 16, v14
	s_waitcnt vmcnt(7)
	v_lshrrev_b32_e32 v30, 16, v34
	s_waitcnt vmcnt(6)
	v_lshrrev_b32_e32 v23, 16, v19
	s_waitcnt vmcnt(5)
	v_lshrrev_b32_e32 v32, 16, v29
	s_waitcnt vmcnt(4)
	v_lshrrev_b32_e32 v20, 16, v22
	s_waitcnt vmcnt(3)
	v_lshrrev_b32_e32 v33, 16, v31
	s_waitcnt vmcnt(2)
	v_lshrrev_b32_e32 v21, 16, v24
	s_waitcnt vmcnt(1)
	v_lshrrev_b32_e32 v35, 16, v36
	s_waitcnt vmcnt(0)
	v_lshrrev_b32_e32 v18, 16, v25
.LBB0_13:
	s_or_b32 exec_lo, exec_lo, s1
	v_add_f16_e32 v0, v38, v39
	v_sub_f16_e32 v6, v47, v50
	v_add_f16_e32 v55, v40, v51
	v_add_f16_e32 v5, v16, v40
	v_sub_f16_e32 v52, v48, v49
	v_fma_f16 v0, -0.5, v0, v16
	v_add_f16_e32 v58, v37, v47
	v_fmac_f16_e32 v16, -0.5, v55
	v_sub_f16_e32 v53, v40, v38
	v_sub_f16_e32 v54, v51, v39
	v_fmamk_f16 v56, v6, 0xbb9c, v0
	v_fmac_f16_e32 v0, 0x3b9c, v6
	v_fmamk_f16 v55, v52, 0x3b9c, v16
	v_fmac_f16_e32 v16, 0xbb9c, v52
	v_add_f16_e32 v5, v5, v38
	v_fmac_f16_e32 v56, 0xb8b4, v52
	v_fmac_f16_e32 v0, 0x38b4, v52
	v_add_f16_e32 v52, v58, v48
	v_sub_f16_e32 v57, v38, v40
	v_add_f16_e32 v53, v53, v54
	v_sub_f16_e32 v54, v39, v51
	v_add_f16_e32 v59, v48, v49
	v_fmac_f16_e32 v55, 0xb8b4, v6
	v_fmac_f16_e32 v16, 0x38b4, v6
	v_add_f16_e32 v6, v52, v49
	v_add_f16_e32 v52, v47, v50
	;; [unrolled: 1-line block ×4, first 2 shown]
	v_fma_f16 v57, -0.5, v59, v37
	v_sub_f16_e32 v40, v40, v51
	v_sub_f16_e32 v38, v38, v39
	v_fmac_f16_e32 v37, -0.5, v52
	v_add_f16_e32 v5, v5, v51
	v_fmac_f16_e32 v56, 0x34f2, v53
	v_fmac_f16_e32 v0, 0x34f2, v53
	v_fmamk_f16 v51, v40, 0x3b9c, v57
	v_sub_f16_e32 v39, v47, v48
	v_sub_f16_e32 v53, v50, v49
	v_fmac_f16_e32 v57, 0xbb9c, v40
	v_fmamk_f16 v52, v38, 0xbb9c, v37
	v_sub_f16_e32 v47, v48, v47
	v_sub_f16_e32 v48, v49, v50
	v_fmac_f16_e32 v37, 0x3b9c, v38
	v_fmac_f16_e32 v51, 0x38b4, v38
	v_add_f16_e32 v39, v39, v53
	v_fmac_f16_e32 v57, 0xb8b4, v38
	v_fmac_f16_e32 v52, 0x38b4, v40
	v_add_f16_e32 v47, v47, v48
	v_add_f16_e32 v48, v27, v28
	v_fmac_f16_e32 v37, 0xb8b4, v40
	v_add_f16_e32 v40, v26, v46
	v_fmac_f16_e32 v51, 0x34f2, v39
	;; [unrolled: 2-line block ×3, first 2 shown]
	v_fmac_f16_e32 v52, 0x34f2, v47
	v_fma_f16 v39, -0.5, v48, v17
	v_sub_f16_e32 v48, v45, v42
	v_fmac_f16_e32 v37, 0x34f2, v47
	v_sub_f16_e32 v47, v43, v44
	v_fmac_f16_e32 v17, -0.5, v40
	v_add_f16_e32 v38, v49, v27
	v_fmamk_f16 v40, v48, 0xbb9c, v39
	v_fmac_f16_e32 v39, 0x3b9c, v48
	v_fmac_f16_e32 v55, 0x34f2, v54
	v_fmamk_f16 v53, v47, 0x3b9c, v17
	v_fmac_f16_e32 v17, 0xbb9c, v47
	v_fmac_f16_e32 v16, 0x34f2, v54
	v_add_f16_e32 v6, v6, v50
	v_add_f16_e32 v38, v38, v28
	v_sub_f16_e32 v49, v26, v27
	v_sub_f16_e32 v50, v46, v28
	v_sub_f16_e32 v54, v27, v26
	v_sub_f16_e32 v58, v28, v46
	v_fmac_f16_e32 v40, 0xb8b4, v47
	v_fmac_f16_e32 v39, 0x38b4, v47
	;; [unrolled: 1-line block ×3, first 2 shown]
	v_add_f16_e32 v47, v43, v44
	v_fmac_f16_e32 v17, 0x38b4, v48
	v_add_f16_e32 v48, v45, v42
	v_add_f16_e32 v38, v38, v46
	v_add_f16_e32 v49, v49, v50
	v_add_f16_e32 v50, v54, v58
	v_fma_f16 v47, -0.5, v47, v41
	v_sub_f16_e32 v26, v26, v46
	v_add_f16_e32 v46, v41, v45
	v_sub_f16_e32 v27, v27, v28
	v_fmac_f16_e32 v41, -0.5, v48
	v_fmac_f16_e32 v40, 0x34f2, v49
	v_fmac_f16_e32 v39, 0x34f2, v49
	;; [unrolled: 1-line block ×4, first 2 shown]
	v_fmamk_f16 v28, v26, 0x3b9c, v47
	v_sub_f16_e32 v48, v45, v43
	v_sub_f16_e32 v49, v42, v44
	v_fmamk_f16 v50, v27, 0xbb9c, v41
	v_sub_f16_e32 v45, v43, v45
	v_sub_f16_e32 v54, v44, v42
	v_fmac_f16_e32 v41, 0x3b9c, v27
	v_fmac_f16_e32 v28, 0x38b4, v27
	v_add_f16_e32 v48, v48, v49
	v_fmac_f16_e32 v50, 0x38b4, v26
	v_add_f16_e32 v45, v45, v54
	v_fmac_f16_e32 v47, 0xbb9c, v26
	v_fmac_f16_e32 v41, 0xb8b4, v26
	v_add_f16_e32 v26, v46, v43
	v_fmac_f16_e32 v28, 0x34f2, v48
	v_fmac_f16_e32 v50, 0x34f2, v45
	;; [unrolled: 1-line block ×4, first 2 shown]
	v_add_f16_e32 v26, v26, v44
	v_mul_f16_e32 v27, 0xb8b4, v28
	v_mul_f16_e32 v43, 0xbb9c, v50
	v_fmac_f16_e32 v47, 0x34f2, v48
	v_mul_f16_e32 v44, 0xbb9c, v41
	v_add_f16_e32 v26, v26, v42
	v_fmac_f16_e32 v27, 0x3a79, v40
	v_fmac_f16_e32 v43, 0x34f2, v53
	v_mul_f16_e32 v42, 0xb8b4, v47
	v_mul_f16_e32 v28, 0x3a79, v28
	;; [unrolled: 1-line block ×3, first 2 shown]
	v_fmac_f16_e32 v44, 0xb4f2, v17
	v_add_f16_e32 v45, v5, v38
	v_add_f16_e32 v46, v56, v27
	v_fmac_f16_e32 v42, 0xba79, v39
	v_mul_f16_e32 v41, 0xb4f2, v41
	v_mul_f16_e32 v47, 0xba79, v47
	v_fmac_f16_e32 v28, 0x38b4, v40
	v_fmac_f16_e32 v53, 0x34f2, v50
	v_sub_f16_e32 v5, v5, v38
	v_sub_f16_e32 v27, v56, v27
	v_add_f16_e32 v38, v29, v31
	v_add_f16_e32 v56, v34, v36
	;; [unrolled: 1-line block ×5, first 2 shown]
	v_fmac_f16_e32 v41, 0x3b9c, v17
	v_fmac_f16_e32 v47, 0x38b4, v39
	v_add_f16_e32 v39, v51, v28
	v_add_f16_e32 v40, v52, v53
	v_sub_f16_e32 v43, v55, v43
	v_sub_f16_e32 v16, v16, v44
	;; [unrolled: 1-line block ×3, first 2 shown]
	v_add_f16_e32 v42, v12, v34
	v_fma_f16 v38, -0.5, v38, v12
	v_sub_f16_e32 v44, v30, v35
	v_sub_f16_e32 v28, v51, v28
	;; [unrolled: 1-line block ×6, first 2 shown]
	v_fmac_f16_e32 v12, -0.5, v56
	v_add_f16_e32 v17, v6, v26
	v_add_f16_e32 v50, v37, v41
	;; [unrolled: 1-line block ×3, first 2 shown]
	v_sub_f16_e32 v26, v6, v26
	v_add_f16_e32 v6, v42, v29
	v_fmamk_f16 v42, v44, 0xbb9c, v38
	v_sub_f16_e32 v37, v37, v41
	v_add_f16_e32 v41, v53, v55
	v_sub_f16_e32 v47, v57, v47
	v_fmac_f16_e32 v38, 0x3b9c, v44
	v_fmamk_f16 v53, v52, 0x3b9c, v12
	v_sub_f16_e32 v55, v29, v34
	v_sub_f16_e32 v56, v31, v36
	v_add_f16_e32 v57, v13, v30
	v_add_f16_e32 v59, v32, v33
	v_fmac_f16_e32 v12, 0xbb9c, v52
	v_add_f16_e32 v6, v6, v31
	v_fmac_f16_e32 v42, 0xb8b4, v52
	v_fmac_f16_e32 v38, 0x38b4, v52
	;; [unrolled: 1-line block ×3, first 2 shown]
	v_add_f16_e32 v55, v55, v56
	v_add_f16_e32 v52, v57, v32
	v_fma_f16 v56, -0.5, v59, v13
	v_sub_f16_e32 v34, v34, v36
	v_fmac_f16_e32 v12, 0x38b4, v44
	v_add_f16_e32 v44, v30, v35
	v_add_f16_e32 v6, v6, v36
	v_fmac_f16_e32 v42, 0x34f2, v41
	v_fmac_f16_e32 v38, 0x34f2, v41
	v_add_f16_e32 v36, v52, v33
	v_fmamk_f16 v41, v34, 0x3b9c, v56
	v_sub_f16_e32 v29, v29, v31
	v_sub_f16_e32 v31, v30, v32
	;; [unrolled: 1-line block ×3, first 2 shown]
	v_fmac_f16_e32 v13, -0.5, v44
	v_fmac_f16_e32 v56, 0xbb9c, v34
	v_sub_f16_e32 v30, v32, v30
	v_sub_f16_e32 v32, v33, v35
	v_fmac_f16_e32 v41, 0x38b4, v29
	v_add_f16_e32 v31, v31, v52
	v_fmamk_f16 v44, v29, 0xbb9c, v13
	v_fmac_f16_e32 v56, 0xb8b4, v29
	v_add_f16_e32 v30, v30, v32
	v_fmac_f16_e32 v13, 0x3b9c, v29
	v_add_f16_e32 v32, v22, v24
	;; [unrolled: 2-line block ×3, first 2 shown]
	v_fmac_f16_e32 v44, 0x38b4, v34
	v_fmac_f16_e32 v56, 0x34f2, v31
	;; [unrolled: 1-line block ×3, first 2 shown]
	v_fma_f16 v31, -0.5, v32, v14
	v_add_f16_e32 v32, v19, v25
	v_add_f16_e32 v29, v33, v22
	v_fmac_f16_e32 v44, 0x34f2, v30
	v_sub_f16_e32 v33, v23, v18
	v_fmac_f16_e32 v13, 0x34f2, v30
	v_sub_f16_e32 v30, v20, v21
	v_fmac_f16_e32 v14, -0.5, v32
	v_fmac_f16_e32 v53, 0x34f2, v55
	v_fmamk_f16 v32, v33, 0xbb9c, v31
	v_fmac_f16_e32 v31, 0x3b9c, v33
	v_fmac_f16_e32 v12, 0x34f2, v55
	v_fmamk_f16 v52, v30, 0x3b9c, v14
	v_fmac_f16_e32 v14, 0xbb9c, v30
	v_add_f16_e32 v36, v36, v35
	v_add_f16_e32 v29, v29, v24
	v_sub_f16_e32 v34, v19, v22
	v_sub_f16_e32 v35, v25, v24
	;; [unrolled: 1-line block ×4, first 2 shown]
	v_fmac_f16_e32 v32, 0xb8b4, v30
	v_fmac_f16_e32 v31, 0x38b4, v30
	;; [unrolled: 1-line block ×3, first 2 shown]
	v_add_f16_e32 v30, v20, v21
	v_fmac_f16_e32 v14, 0x38b4, v33
	v_add_f16_e32 v33, v23, v18
	v_add_f16_e32 v29, v29, v25
	;; [unrolled: 1-line block ×4, first 2 shown]
	v_fma_f16 v30, -0.5, v30, v15
	v_sub_f16_e32 v19, v19, v25
	v_add_f16_e32 v25, v15, v23
	v_sub_f16_e32 v22, v22, v24
	v_fmac_f16_e32 v15, -0.5, v33
	v_fmac_f16_e32 v32, 0x34f2, v34
	v_fmac_f16_e32 v31, 0x34f2, v34
	;; [unrolled: 1-line block ×4, first 2 shown]
	v_fmamk_f16 v24, v19, 0x3b9c, v30
	v_sub_f16_e32 v33, v23, v20
	v_sub_f16_e32 v34, v18, v21
	v_fmamk_f16 v35, v22, 0xbb9c, v15
	v_sub_f16_e32 v23, v20, v23
	v_sub_f16_e32 v55, v21, v18
	v_fmac_f16_e32 v15, 0x3b9c, v22
	v_fmac_f16_e32 v24, 0x38b4, v22
	v_add_f16_e32 v33, v33, v34
	v_fmac_f16_e32 v35, 0x38b4, v19
	v_add_f16_e32 v23, v23, v55
	v_fmac_f16_e32 v15, 0xb8b4, v19
	v_fmac_f16_e32 v30, 0xbb9c, v19
	v_add_f16_e32 v19, v25, v20
	v_fmac_f16_e32 v24, 0x34f2, v33
	v_fmac_f16_e32 v35, 0x34f2, v23
	;; [unrolled: 1-line block ×4, first 2 shown]
	v_add_f16_e32 v19, v19, v21
	v_mul_f16_e32 v20, 0xb8b4, v24
	v_mul_f16_e32 v21, 0xbb9c, v35
	v_mul_f16_e32 v22, 0xbb9c, v15
	v_fmac_f16_e32 v30, 0x34f2, v33
	v_mul_f16_e32 v15, 0xb4f2, v15
	v_fmac_f16_e32 v20, 0x3a79, v32
	v_fmac_f16_e32 v21, 0x34f2, v52
	;; [unrolled: 1-line block ×3, first 2 shown]
	v_add_f16_e32 v18, v19, v18
	v_mul_f16_e32 v19, 0xb8b4, v30
	v_add_f16_e32 v25, v42, v20
	v_add_f16_e32 v33, v53, v21
	;; [unrolled: 1-line block ×3, first 2 shown]
	v_mul_f16_e32 v30, 0xba79, v30
	v_fmac_f16_e32 v15, 0x3b9c, v14
	v_sub_f16_e32 v14, v42, v20
	v_sub_f16_e32 v20, v53, v21
	;; [unrolled: 1-line block ×3, first 2 shown]
	v_mul_u32_u24_e32 v12, 10, v7
	v_fmac_f16_e32 v19, 0xba79, v31
	v_add_f16_e32 v23, v6, v29
	v_fmac_f16_e32 v30, 0x38b4, v31
	v_add_f16_e32 v31, v36, v18
	v_sub_f16_e32 v18, v36, v18
	v_lshl_add_u32 v36, v12, 1, 0
	v_mul_i32_i24_e32 v12, 10, v10
	v_add_f16_e32 v55, v38, v19
	v_sub_f16_e32 v6, v6, v29
	v_add_f16_e32 v57, v13, v15
	v_sub_f16_e32 v19, v38, v19
	v_sub_f16_e32 v29, v13, v15
	v_pack_b32_f16 v13, v48, v49
	v_pack_b32_f16 v15, v45, v46
	v_pack_b32_f16 v27, v27, v43
	v_pack_b32_f16 v5, v54, v5
	v_pack_b32_f16 v0, v16, v0
	v_lshl_add_u32 v12, v12, 1, 0
	v_pack_b32_f16 v16, v33, v34
	v_pack_b32_f16 v23, v23, v25
	;; [unrolled: 1-line block ×4, first 2 shown]
	s_load_b64 s[2:3], s[2:3], 0x0
	v_pack_b32_f16 v19, v21, v19
	ds_store_2addr_b32 v36, v15, v13 offset1:1
	ds_store_2addr_b32 v36, v5, v27 offset0:2 offset1:3
	ds_store_b32 v36, v0 offset:16
	ds_store_2addr_b32 v12, v23, v16 offset1:1
	ds_store_2addr_b32 v12, v6, v14 offset0:2 offset1:3
	ds_store_b32 v12, v19 offset:16
	v_and_b32_e32 v6, 0xff, v7
	v_mul_f16_e32 v24, 0x3a79, v24
	v_mul_f16_e32 v52, 0x3b9c, v52
	v_lshl_add_u32 v13, v9, 1, 0
	v_mad_i32_i24 v0, 0xffffffee, v7, v36
	v_mul_lo_u16 v6, 0xcd, v6
	v_fmac_f16_e32 v24, 0x38b4, v32
	v_fmac_f16_e32 v52, 0x34f2, v35
	v_pack_b32_f16 v19, v40, v50
	v_pack_b32_f16 v17, v17, v39
	v_lshrrev_b16 v6, 11, v6
	v_add_f16_e32 v32, v41, v24
	v_sub_f16_e32 v22, v41, v24
	v_sub_f16_e32 v24, v44, v52
	v_mad_i32_i24 v15, 0xffffffee, v10, v12
	v_mul_lo_u16 v16, v6, 10
	v_pack_b32_f16 v21, v28, v51
	v_pack_b32_f16 v23, v58, v26
	v_lshl_add_u32 v14, v8, 1, 0
	v_pack_b32_f16 v25, v37, v47
	v_sub_nc_u16 v16, v7, v16
	v_add_f16_e32 v35, v44, v52
	v_pack_b32_f16 v22, v22, v24
	v_add_f16_e32 v59, v56, v30
	v_sub_f16_e32 v30, v56, v30
	v_and_b32_e32 v16, 0xff, v16
	s_waitcnt lgkmcnt(0)
	s_barrier
	buffer_gl0_inv
	ds_load_u16 v38, v13
	ds_load_u16 v5, v15
	;; [unrolled: 1-line block ×3, first 2 shown]
	ds_load_u16 v41, v0 offset:1200
	ds_load_u16 v42, v0 offset:4000
	;; [unrolled: 1-line block ×5, first 2 shown]
	v_mul_u32_u24_e32 v24, 9, v16
	ds_load_u16 v46, v0 offset:2400
	ds_load_u16 v48, v0 offset:2000
	;; [unrolled: 1-line block ×10, first 2 shown]
	ds_load_u16 v62, v14
	ds_load_u16 v63, v0 offset:7600
	s_waitcnt lgkmcnt(0)
	s_barrier
	buffer_gl0_inv
	ds_store_2addr_b32 v36, v17, v19 offset1:1
	ds_store_2addr_b32 v36, v23, v21 offset0:2 offset1:3
	ds_store_b32 v36, v25 offset:16
	v_and_b32_e32 v17, 0xffff, v10
	v_pack_b32_f16 v26, v35, v57
	v_pack_b32_f16 v27, v31, v32
	v_lshlrev_b32_e32 v19, 2, v24
	v_pack_b32_f16 v18, v59, v18
	v_pack_b32_f16 v28, v29, v30
	v_mul_u32_u24_e32 v17, 0xcccd, v17
	ds_store_2addr_b32 v12, v27, v26 offset1:1
	ds_store_2addr_b32 v12, v18, v22 offset0:2 offset1:3
	ds_store_b32 v12, v28 offset:16
	s_waitcnt lgkmcnt(0)
	s_barrier
	buffer_gl0_inv
	s_clause 0x1
	global_load_b128 v[21:24], v19, s[8:9]
	global_load_b128 v[25:28], v19, s[8:9] offset:16
	v_lshrrev_b32_e32 v17, 19, v17
	global_load_b32 v37, v19, s[8:9] offset:32
	v_and_b32_e32 v6, 0xffff, v6
	v_lshlrev_b32_e32 v16, 1, v16
	v_cmp_gt_u32_e64 s0, 0x64, v7
	v_mul_lo_u16 v18, v17, 10
	v_mul_u32_u24_e32 v17, 0xc8, v17
	v_mul_u32_u24_e32 v6, 0xc8, v6
	s_delay_alu instid0(VALU_DEP_3) | instskip(NEXT) | instid1(VALU_DEP_1)
	v_sub_nc_u16 v18, v10, v18
	v_and_b32_e32 v18, 0xffff, v18
	s_delay_alu instid0(VALU_DEP_1) | instskip(SKIP_1) | instid1(VALU_DEP_2)
	v_mul_u32_u24_e32 v29, 9, v18
	v_lshlrev_b32_e32 v18, 1, v18
	v_lshlrev_b32_e32 v19, 2, v29
	s_clause 0x2
	global_load_b128 v[29:32], v19, s[8:9]
	global_load_b128 v[33:36], v19, s[8:9] offset:16
	global_load_b32 v39, v19, s[8:9] offset:32
	ds_load_u16 v40, v14
	ds_load_u16 v47, v13
	ds_load_u16 v19, v15
	ds_load_u16 v50, v0
	ds_load_u16 v51, v0 offset:1200
	ds_load_u16 v57, v0 offset:4000
	;; [unrolled: 1-line block ×16, first 2 shown]
	s_waitcnt vmcnt(0) lgkmcnt(0)
	s_barrier
	buffer_gl0_inv
	v_lshrrev_b32_e32 v73, 16, v21
	v_lshrrev_b32_e32 v77, 16, v22
	;; [unrolled: 1-line block ×4, first 2 shown]
	s_delay_alu instid0(VALU_DEP_4) | instskip(SKIP_2) | instid1(VALU_DEP_3)
	v_mul_f16_e32 v78, v40, v73
	v_mul_f16_e32 v73, v62, v73
	;; [unrolled: 1-line block ×3, first 2 shown]
	v_fmac_f16_e32 v78, v62, v21
	v_mul_f16_e32 v62, v38, v77
	s_delay_alu instid0(VALU_DEP_4)
	v_fma_f16 v40, v40, v21, -v73
	v_mul_f16_e32 v73, v65, v79
	v_mul_f16_e32 v21, v46, v79
	v_fmac_f16_e32 v81, v38, v22
	v_fma_f16 v38, v47, v22, -v62
	v_mul_f16_e32 v47, v59, v80
	v_fmac_f16_e32 v73, v46, v23
	v_mul_f16_e32 v22, v44, v80
	v_fma_f16 v46, v65, v23, -v21
	v_lshrrev_b32_e32 v21, 16, v25
	v_lshrrev_b32_e32 v23, 16, v26
	v_fmac_f16_e32 v47, v44, v24
	v_fma_f16 v44, v59, v24, -v22
	v_lshrrev_b32_e32 v22, 16, v27
	v_mul_f16_e32 v59, v57, v21
	v_mul_f16_e32 v21, v42, v21
	;; [unrolled: 1-line block ×3, first 2 shown]
	v_lshrrev_b32_e32 v24, 16, v28
	v_mul_f16_e32 v23, v60, v23
	v_fmac_f16_e32 v59, v42, v25
	v_fma_f16 v42, v57, v25, -v21
	v_fmac_f16_e32 v62, v60, v26
	v_mul_f16_e32 v57, v71, v22
	v_fma_f16 v60, v74, v26, -v23
	v_mul_f16_e32 v21, v55, v22
	v_lshrrev_b32_e32 v22, 16, v37
	v_mul_f16_e32 v65, v69, v24
	v_mul_f16_e32 v23, v53, v24
	v_fmac_f16_e32 v57, v55, v27
	v_fma_f16 v55, v71, v27, -v21
	v_mul_f16_e32 v71, v67, v22
	v_fmac_f16_e32 v65, v53, v28
	v_mul_f16_e32 v21, v49, v22
	v_fma_f16 v28, v69, v28, -v23
	v_lshrrev_b32_e32 v22, 16, v29
	v_lshrrev_b32_e32 v23, 16, v30
	v_fmac_f16_e32 v71, v49, v37
	v_fma_f16 v37, v67, v37, -v21
	v_lshrrev_b32_e32 v24, 16, v31
	v_mul_f16_e32 v21, v51, v22
	v_mul_f16_e32 v22, v41, v22
	;; [unrolled: 1-line block ×4, first 2 shown]
	v_lshrrev_b32_e32 v25, 16, v32
	v_fmac_f16_e32 v21, v41, v29
	v_fma_f16 v22, v51, v29, -v22
	v_mul_f16_e32 v26, v64, v24
	v_fma_f16 v29, v66, v30, -v23
	v_mul_f16_e32 v23, v45, v24
	v_mul_f16_e32 v24, v43, v25
	v_fmac_f16_e32 v49, v48, v30
	v_mul_f16_e32 v30, v58, v25
	v_fmac_f16_e32 v26, v45, v31
	v_fma_f16 v25, v64, v31, -v23
	v_fma_f16 v31, v58, v32, -v24
	v_lshrrev_b32_e32 v24, 16, v35
	v_lshrrev_b32_e32 v41, 16, v33
	;; [unrolled: 1-line block ×3, first 2 shown]
	v_fmac_f16_e32 v30, v43, v32
	v_lshrrev_b32_e32 v32, 16, v36
	v_mul_f16_e32 v48, v70, v24
	v_mul_f16_e32 v24, v54, v24
	v_mul_f16_e32 v27, v75, v41
	v_mul_f16_e32 v41, v61, v41
	v_mul_f16_e32 v43, v72, v23
	v_mul_f16_e32 v45, v56, v23
	v_fmac_f16_e32 v48, v54, v35
	v_fma_f16 v24, v70, v35, -v24
	v_add_f16_e32 v35, v47, v62
	v_fmac_f16_e32 v27, v61, v33
	v_fma_f16 v23, v75, v33, -v41
	v_fmac_f16_e32 v43, v56, v34
	v_fma_f16 v33, v72, v34, -v45
	v_lshrrev_b32_e32 v34, 16, v39
	v_mul_f16_e32 v41, v68, v32
	v_mul_f16_e32 v32, v52, v32
	v_add_f16_e32 v51, v20, v81
	v_fma_f16 v35, -0.5, v35, v20
	v_sub_f16_e32 v53, v38, v28
	v_add_f16_e32 v58, v81, v65
	v_mul_f16_e32 v45, v76, v34
	v_fmac_f16_e32 v41, v52, v36
	v_fma_f16 v32, v68, v36, -v32
	v_add_f16_e32 v36, v51, v47
	v_fmamk_f16 v51, v53, 0xbb9c, v35
	v_sub_f16_e32 v52, v44, v60
	v_sub_f16_e32 v54, v81, v47
	;; [unrolled: 1-line block ×3, first 2 shown]
	v_mul_f16_e32 v34, v63, v34
	v_fmac_f16_e32 v20, -0.5, v58
	v_fmac_f16_e32 v35, 0x3b9c, v53
	v_add_f16_e32 v61, v50, v38
	v_fmac_f16_e32 v45, v63, v39
	v_fmac_f16_e32 v51, 0xb8b4, v52
	v_add_f16_e32 v54, v54, v56
	v_fma_f16 v34, v76, v39, -v34
	v_fmamk_f16 v39, v52, 0x3b9c, v20
	v_sub_f16_e32 v56, v47, v81
	v_sub_f16_e32 v58, v62, v65
	v_fmac_f16_e32 v35, 0x38b4, v52
	v_add_f16_e32 v63, v44, v60
	v_fmac_f16_e32 v20, 0xbb9c, v52
	v_add_f16_e32 v52, v61, v44
	;; [unrolled: 2-line block ×3, first 2 shown]
	v_fma_f16 v58, -0.5, v63, v50
	v_sub_f16_e32 v61, v81, v65
	v_fmac_f16_e32 v35, 0x34f2, v54
	v_add_f16_e32 v52, v52, v60
	v_add_f16_e32 v54, v38, v28
	;; [unrolled: 1-line block ×3, first 2 shown]
	v_fmac_f16_e32 v39, 0xb8b4, v53
	v_fmac_f16_e32 v20, 0x38b4, v53
	v_fmamk_f16 v53, v61, 0x3b9c, v58
	v_sub_f16_e32 v47, v47, v62
	v_sub_f16_e32 v62, v38, v44
	;; [unrolled: 1-line block ×3, first 2 shown]
	v_fmac_f16_e32 v50, -0.5, v54
	v_add_f16_e32 v52, v52, v28
	v_fmac_f16_e32 v58, 0xbb9c, v61
	v_sub_f16_e32 v38, v44, v38
	v_sub_f16_e32 v28, v60, v28
	v_add_f16_e32 v44, v78, v73
	v_fmac_f16_e32 v39, 0x34f2, v56
	v_fmac_f16_e32 v20, 0x34f2, v56
	;; [unrolled: 1-line block ×3, first 2 shown]
	v_add_f16_e32 v54, v62, v63
	v_fmamk_f16 v56, v47, 0xbb9c, v50
	v_fmac_f16_e32 v58, 0xb8b4, v47
	v_add_f16_e32 v28, v38, v28
	v_fmac_f16_e32 v50, 0x3b9c, v47
	v_add_f16_e32 v38, v44, v59
	v_add_f16_e32 v44, v59, v57
	v_fmac_f16_e32 v53, 0x34f2, v54
	v_fmac_f16_e32 v56, 0x38b4, v61
	;; [unrolled: 1-line block ×4, first 2 shown]
	v_add_f16_e32 v38, v38, v57
	v_fma_f16 v44, -0.5, v44, v78
	v_add_f16_e32 v47, v73, v71
	v_sub_f16_e32 v54, v46, v37
	v_fmac_f16_e32 v56, 0x34f2, v28
	v_fmac_f16_e32 v50, 0x34f2, v28
	v_add_f16_e32 v28, v38, v71
	v_sub_f16_e32 v38, v42, v55
	v_fmac_f16_e32 v78, -0.5, v47
	v_fmamk_f16 v47, v54, 0xbb9c, v44
	v_sub_f16_e32 v60, v73, v59
	v_sub_f16_e32 v61, v71, v57
	v_fmac_f16_e32 v44, 0x3b9c, v54
	v_fmamk_f16 v62, v38, 0x3b9c, v78
	v_sub_f16_e32 v63, v59, v73
	v_sub_f16_e32 v64, v57, v71
	v_fmac_f16_e32 v47, 0xb8b4, v38
	v_add_f16_e32 v60, v60, v61
	v_fmac_f16_e32 v44, 0x38b4, v38
	v_fmac_f16_e32 v78, 0xbb9c, v38
	v_add_f16_e32 v38, v42, v55
	v_fmac_f16_e32 v62, 0xb8b4, v54
	v_add_f16_e32 v61, v63, v64
	v_fmac_f16_e32 v47, 0x34f2, v60
	v_fmac_f16_e32 v44, 0x34f2, v60
	;; [unrolled: 1-line block ×3, first 2 shown]
	v_add_f16_e32 v54, v46, v37
	v_fma_f16 v38, -0.5, v38, v40
	v_sub_f16_e32 v60, v73, v71
	v_fmac_f16_e32 v62, 0x34f2, v61
	v_add_f16_e32 v63, v40, v46
	v_sub_f16_e32 v57, v59, v57
	v_fmac_f16_e32 v40, -0.5, v54
	v_fmac_f16_e32 v78, 0x34f2, v61
	v_fmamk_f16 v54, v60, 0x3b9c, v38
	v_sub_f16_e32 v59, v46, v42
	v_sub_f16_e32 v61, v37, v55
	v_add_f16_e32 v36, v36, v65
	v_fmamk_f16 v64, v57, 0xbb9c, v40
	v_sub_f16_e32 v46, v42, v46
	v_sub_f16_e32 v65, v55, v37
	v_fmac_f16_e32 v40, 0x3b9c, v57
	v_fmac_f16_e32 v54, 0x38b4, v57
	v_add_f16_e32 v59, v59, v61
	v_fmac_f16_e32 v38, 0xbb9c, v60
	v_fmac_f16_e32 v64, 0x38b4, v60
	v_add_f16_e32 v46, v46, v65
	v_fmac_f16_e32 v40, 0xb8b4, v60
	v_add_f16_e32 v42, v63, v42
	v_fmac_f16_e32 v54, 0x34f2, v59
	v_fmac_f16_e32 v38, 0xb8b4, v57
	;; [unrolled: 1-line block ×4, first 2 shown]
	v_add_f16_e32 v42, v42, v55
	v_mul_f16_e32 v46, 0xb8b4, v54
	v_fmac_f16_e32 v38, 0x34f2, v59
	v_mul_f16_e32 v55, 0xbb9c, v64
	v_mul_f16_e32 v54, 0x3a79, v54
	v_add_f16_e32 v37, v42, v37
	v_fmac_f16_e32 v46, 0x3a79, v47
	v_mul_f16_e32 v42, 0xb8b4, v38
	v_mul_f16_e32 v64, 0x34f2, v64
	;; [unrolled: 1-line block ×3, first 2 shown]
	v_add_f16_e32 v59, v36, v28
	v_add_f16_e32 v60, v51, v46
	v_fmac_f16_e32 v42, 0xba79, v44
	v_mul_f16_e32 v38, 0xba79, v38
	v_fmac_f16_e32 v54, 0x38b4, v47
	v_fmac_f16_e32 v64, 0x3b9c, v62
	v_sub_f16_e32 v28, v36, v28
	v_sub_f16_e32 v36, v51, v46
	v_add_f16_e32 v46, v30, v43
	v_fmac_f16_e32 v55, 0x34f2, v62
	v_fmac_f16_e32 v57, 0xb4f2, v78
	v_mul_f16_e32 v40, 0xb4f2, v40
	v_add_f16_e32 v65, v35, v42
	v_fmac_f16_e32 v38, 0x38b4, v44
	v_add_f16_e32 v44, v52, v37
	v_add_f16_e32 v47, v53, v54
	;; [unrolled: 1-line block ×3, first 2 shown]
	v_sub_f16_e32 v35, v35, v42
	v_add_f16_e32 v42, v5, v49
	v_fma_f16 v46, -0.5, v46, v5
	v_sub_f16_e32 v51, v29, v32
	v_sub_f16_e32 v37, v52, v37
	;; [unrolled: 1-line block ×4, first 2 shown]
	v_add_f16_e32 v64, v49, v41
	v_add_f16_e32 v61, v39, v55
	;; [unrolled: 1-line block ×3, first 2 shown]
	v_fmac_f16_e32 v40, 0x3b9c, v78
	v_sub_f16_e32 v39, v39, v55
	v_sub_f16_e32 v20, v20, v57
	v_add_f16_e32 v42, v42, v30
	v_fmamk_f16 v54, v51, 0xbb9c, v46
	v_sub_f16_e32 v55, v31, v33
	v_sub_f16_e32 v56, v49, v30
	;; [unrolled: 1-line block ×3, first 2 shown]
	v_fmac_f16_e32 v5, -0.5, v64
	v_fmac_f16_e32 v46, 0x3b9c, v51
	v_add_f16_e32 v64, v19, v29
	v_add_f16_e32 v66, v50, v40
	;; [unrolled: 1-line block ×3, first 2 shown]
	v_sub_f16_e32 v40, v50, v40
	v_add_f16_e32 v42, v42, v43
	v_fmac_f16_e32 v54, 0xb8b4, v55
	v_add_f16_e32 v50, v56, v57
	v_sub_f16_e32 v38, v58, v38
	v_fmamk_f16 v56, v55, 0x3b9c, v5
	v_sub_f16_e32 v57, v30, v49
	v_sub_f16_e32 v58, v43, v41
	v_fmac_f16_e32 v46, 0x38b4, v55
	v_add_f16_e32 v68, v31, v33
	v_fmac_f16_e32 v5, 0xbb9c, v55
	v_add_f16_e32 v55, v64, v31
	v_add_f16_e32 v42, v42, v41
	v_fmac_f16_e32 v56, 0xb8b4, v51
	v_add_f16_e32 v57, v57, v58
	v_fma_f16 v58, -0.5, v68, v19
	v_sub_f16_e32 v41, v49, v41
	v_fmac_f16_e32 v5, 0x38b4, v51
	v_add_f16_e32 v49, v55, v33
	v_add_f16_e32 v51, v29, v32
	v_fmac_f16_e32 v54, 0x34f2, v50
	v_fmac_f16_e32 v46, 0x34f2, v50
	v_fmamk_f16 v50, v41, 0x3b9c, v58
	v_sub_f16_e32 v30, v30, v43
	v_sub_f16_e32 v43, v29, v31
	;; [unrolled: 1-line block ×3, first 2 shown]
	v_fmac_f16_e32 v19, -0.5, v51
	v_add_f16_e32 v49, v49, v32
	v_fmac_f16_e32 v58, 0xbb9c, v41
	v_sub_f16_e32 v29, v31, v29
	v_sub_f16_e32 v31, v33, v32
	v_add_f16_e32 v32, v21, v26
	v_fmac_f16_e32 v50, 0x38b4, v30
	v_fmamk_f16 v51, v30, 0xbb9c, v19
	v_fmac_f16_e32 v58, 0xb8b4, v30
	v_fmac_f16_e32 v19, 0x3b9c, v30
	v_add_f16_e32 v30, v32, v27
	v_add_f16_e32 v29, v29, v31
	v_fmac_f16_e32 v51, 0x38b4, v41
	v_add_f16_e32 v31, v27, v48
	v_fmac_f16_e32 v19, 0xb8b4, v41
	v_add_f16_e32 v30, v30, v48
	v_add_f16_e32 v32, v26, v45
	;; [unrolled: 1-line block ×3, first 2 shown]
	v_fmac_f16_e32 v51, 0x34f2, v29
	v_fma_f16 v31, -0.5, v31, v21
	v_sub_f16_e32 v33, v25, v34
	v_fmac_f16_e32 v19, 0x34f2, v29
	v_add_f16_e32 v29, v30, v45
	v_sub_f16_e32 v30, v23, v24
	v_fmac_f16_e32 v21, -0.5, v32
	v_fmac_f16_e32 v50, 0x34f2, v43
	v_fmac_f16_e32 v58, 0x34f2, v43
	v_fmamk_f16 v32, v33, 0xbb9c, v31
	v_sub_f16_e32 v41, v26, v27
	v_sub_f16_e32 v43, v45, v48
	v_fmac_f16_e32 v31, 0x3b9c, v33
	v_fmamk_f16 v55, v30, 0x3b9c, v21
	v_fmac_f16_e32 v21, 0xbb9c, v30
	v_fmac_f16_e32 v56, 0x34f2, v57
	v_fmac_f16_e32 v5, 0x34f2, v57
	v_sub_f16_e32 v57, v27, v26
	v_sub_f16_e32 v64, v48, v45
	v_fmac_f16_e32 v32, 0xb8b4, v30
	v_add_f16_e32 v41, v41, v43
	v_fmac_f16_e32 v31, 0x38b4, v30
	v_fmac_f16_e32 v55, 0xb8b4, v33
	v_add_f16_e32 v30, v23, v24
	v_fmac_f16_e32 v21, 0x38b4, v33
	v_add_f16_e32 v33, v25, v34
	v_add_f16_e32 v43, v57, v64
	v_fmac_f16_e32 v32, 0x34f2, v41
	v_fmac_f16_e32 v31, 0x34f2, v41
	v_fma_f16 v30, -0.5, v30, v22
	v_add_f16_e32 v41, v22, v25
	v_sub_f16_e32 v27, v27, v48
	v_fmac_f16_e32 v22, -0.5, v33
	v_fmac_f16_e32 v55, 0x34f2, v43
	v_sub_f16_e32 v26, v26, v45
	v_fmac_f16_e32 v21, 0x34f2, v43
	v_sub_f16_e32 v43, v25, v23
	v_fmamk_f16 v48, v27, 0xbb9c, v22
	v_sub_f16_e32 v25, v23, v25
	v_sub_f16_e32 v57, v24, v34
	v_fmac_f16_e32 v22, 0x3b9c, v27
	v_fmamk_f16 v33, v26, 0x3b9c, v30
	v_sub_f16_e32 v45, v34, v24
	v_fmac_f16_e32 v30, 0xbb9c, v26
	v_add_f16_e32 v25, v25, v57
	v_fmac_f16_e32 v22, 0xb8b4, v26
	v_fmac_f16_e32 v33, 0x38b4, v27
	v_add_f16_e32 v43, v43, v45
	v_fmac_f16_e32 v48, 0x38b4, v26
	v_fmac_f16_e32 v30, 0xb8b4, v27
	;; [unrolled: 1-line block ×3, first 2 shown]
	v_add_f16_e32 v23, v41, v23
	v_fmac_f16_e32 v33, 0x34f2, v43
	v_fmac_f16_e32 v48, 0x34f2, v25
	;; [unrolled: 1-line block ×3, first 2 shown]
	v_mul_f16_e32 v26, 0xbb9c, v22
	v_mul_f16_e32 v22, 0xb4f2, v22
	v_add_f16_e32 v23, v23, v24
	v_mul_f16_e32 v24, 0xb8b4, v33
	v_mul_f16_e32 v25, 0xbb9c, v48
	;; [unrolled: 1-line block ×4, first 2 shown]
	v_fmac_f16_e32 v22, 0x3b9c, v21
	v_fmac_f16_e32 v26, 0xb4f2, v21
	;; [unrolled: 1-line block ×6, first 2 shown]
	v_add_f16_e32 v55, v19, v22
	v_sub_f16_e32 v22, v19, v22
	v_add3_u32 v19, 0, v6, v16
	v_add_f16_e32 v45, v5, v26
	v_sub_f16_e32 v5, v5, v26
	v_add_f16_e32 v23, v23, v34
	v_add_f16_e32 v34, v42, v29
	;; [unrolled: 1-line block ×5, first 2 shown]
	v_sub_f16_e32 v29, v42, v29
	v_sub_f16_e32 v24, v54, v24
	;; [unrolled: 1-line block ×4, first 2 shown]
	v_add3_u32 v46, 0, v17, v18
	ds_store_b16 v19, v59
	ds_store_b16 v19, v60 offset:20
	ds_store_b16 v19, v61 offset:40
	;; [unrolled: 1-line block ×9, first 2 shown]
	ds_store_b16 v46, v34
	ds_store_b16 v46, v41 offset:20
	ds_store_b16 v46, v43 offset:40
	ds_store_b16 v46, v45 offset:60
	ds_store_b16 v46, v57 offset:80
	ds_store_b16 v46, v29 offset:100
	ds_store_b16 v46, v24 offset:120
	ds_store_b16 v46, v25 offset:140
	ds_store_b16 v46, v5 offset:160
	ds_store_b16 v46, v26 offset:180
	v_add_nc_u32_e32 v5, 0xffffff9c, v7
	v_mul_f16_e32 v33, 0x3a79, v33
	v_mul_f16_e32 v30, 0xba79, v30
	v_mov_b32_e32 v6, 0
	v_add_f16_e32 v21, v49, v23
	v_cndmask_b32_e64 v17, v5, v7, s0
	v_fmac_f16_e32 v33, 0x38b4, v32
	v_fmac_f16_e32 v30, 0x38b4, v31
	v_add_f16_e32 v32, v51, v48
	v_sub_f16_e32 v23, v49, v23
	v_mul_i32_i24_e32 v5, 9, v17
	v_add_f16_e32 v31, v50, v33
	v_add_f16_e32 v64, v58, v30
	v_sub_f16_e32 v27, v50, v33
	v_sub_f16_e32 v33, v51, v48
	;; [unrolled: 1-line block ×3, first 2 shown]
	s_waitcnt lgkmcnt(0)
	s_barrier
	buffer_gl0_inv
	ds_load_u16 v39, v13
	ds_load_u16 v16, v15
	;; [unrolled: 1-line block ×3, first 2 shown]
	ds_load_u16 v41, v0 offset:1200
	ds_load_u16 v43, v0 offset:4000
	;; [unrolled: 1-line block ×15, first 2 shown]
	ds_load_u16 v65, v14
	ds_load_u16 v68, v0 offset:7600
	s_waitcnt lgkmcnt(0)
	s_barrier
	buffer_gl0_inv
	ds_store_b16 v19, v44
	ds_store_b16 v19, v47 offset:20
	ds_store_b16 v19, v62 offset:40
	;; [unrolled: 1-line block ×9, first 2 shown]
	v_lshlrev_b64 v[18:19], 2, v[5:6]
	v_lshrrev_b16 v5, 2, v10
	ds_store_b16 v46, v21
	ds_store_b16 v46, v31 offset:20
	ds_store_b16 v46, v32 offset:40
	;; [unrolled: 1-line block ×9, first 2 shown]
	s_waitcnt lgkmcnt(0)
	s_barrier
	v_and_b32_e32 v5, 0xffff, v5
	v_add_co_u32 v29, s0, s8, v18
	s_delay_alu instid0(VALU_DEP_1) | instskip(NEXT) | instid1(VALU_DEP_3)
	v_add_co_ci_u32_e64 v30, s0, s9, v19, s0
	v_mul_u32_u24_e32 v5, 0x147b, v5
	buffer_gl0_inv
	v_cmp_lt_u32_e64 s0, 0x63, v7
	s_clause 0x1
	global_load_b128 v[21:24], v[29:30], off offset:360
	global_load_b128 v[25:28], v[29:30], off offset:376
	v_lshrrev_b32_e32 v5, 17, v5
	global_load_b32 v37, v[29:30], off offset:392
	v_lshlrev_b32_e32 v17, 1, v17
	v_mul_lo_u16 v18, 0x64, v5
	v_mul_u32_u24_e32 v5, 0x7d0, v5
	s_delay_alu instid0(VALU_DEP_2) | instskip(NEXT) | instid1(VALU_DEP_1)
	v_sub_nc_u16 v18, v10, v18
	v_and_b32_e32 v18, 0xffff, v18
	s_delay_alu instid0(VALU_DEP_1) | instskip(SKIP_1) | instid1(VALU_DEP_2)
	v_mul_u32_u24_e32 v19, 9, v18
	v_lshlrev_b32_e32 v18, 1, v18
	v_lshlrev_b32_e32 v19, 2, v19
	s_clause 0x2
	global_load_b128 v[29:32], v19, s[8:9] offset:360
	global_load_b128 v[33:36], v19, s[8:9] offset:376
	global_load_b32 v38, v19, s[8:9] offset:392
	ds_load_u16 v40, v14
	ds_load_u16 v42, v13
	;; [unrolled: 1-line block ×4, first 2 shown]
	ds_load_u16 v46, v0 offset:1200
	ds_load_u16 v47, v0 offset:4000
	;; [unrolled: 1-line block ×16, first 2 shown]
	s_waitcnt vmcnt(0) lgkmcnt(0)
	s_barrier
	buffer_gl0_inv
	v_add3_u32 v5, 0, v5, v18
	v_lshrrev_b32_e32 v73, 16, v21
	v_lshrrev_b32_e32 v77, 16, v22
	;; [unrolled: 1-line block ×4, first 2 shown]
	s_delay_alu instid0(VALU_DEP_4) | instskip(SKIP_2) | instid1(VALU_DEP_3)
	v_mul_f16_e32 v78, v40, v73
	v_mul_f16_e32 v73, v65, v73
	;; [unrolled: 1-line block ×3, first 2 shown]
	v_fmac_f16_e32 v78, v65, v21
	v_mul_f16_e32 v65, v39, v77
	s_delay_alu instid0(VALU_DEP_4)
	v_fma_f16 v40, v40, v21, -v73
	v_mul_f16_e32 v73, v62, v79
	v_mul_f16_e32 v21, v50, v79
	v_fmac_f16_e32 v81, v39, v22
	v_fma_f16 v39, v42, v22, -v65
	v_mul_f16_e32 v42, v53, v80
	v_fmac_f16_e32 v73, v50, v23
	v_mul_f16_e32 v22, v48, v80
	v_fma_f16 v50, v62, v23, -v21
	v_lshrrev_b32_e32 v21, 16, v25
	v_lshrrev_b32_e32 v23, 16, v26
	v_fmac_f16_e32 v42, v48, v24
	v_fma_f16 v48, v53, v24, -v22
	v_lshrrev_b32_e32 v22, 16, v27
	v_mul_f16_e32 v53, v47, v21
	v_mul_f16_e32 v21, v43, v21
	;; [unrolled: 1-line block ×3, first 2 shown]
	v_lshrrev_b32_e32 v24, 16, v28
	v_mul_f16_e32 v23, v61, v23
	v_fmac_f16_e32 v53, v43, v25
	v_fma_f16 v43, v47, v25, -v21
	v_fmac_f16_e32 v62, v61, v26
	v_mul_f16_e32 v47, v71, v22
	v_fma_f16 v61, v74, v26, -v23
	v_mul_f16_e32 v21, v59, v22
	v_lshrrev_b32_e32 v22, 16, v37
	v_mul_f16_e32 v65, v69, v24
	v_mul_f16_e32 v23, v57, v24
	v_fmac_f16_e32 v47, v59, v27
	v_fma_f16 v59, v71, v27, -v21
	v_mul_f16_e32 v71, v66, v22
	v_fmac_f16_e32 v65, v57, v28
	v_mul_f16_e32 v21, v54, v22
	v_fma_f16 v28, v69, v28, -v23
	v_lshrrev_b32_e32 v22, 16, v29
	v_lshrrev_b32_e32 v23, 16, v30
	v_fmac_f16_e32 v71, v54, v37
	v_fma_f16 v37, v66, v37, -v21
	v_lshrrev_b32_e32 v24, 16, v31
	v_mul_f16_e32 v21, v46, v22
	v_mul_f16_e32 v22, v41, v22
	;; [unrolled: 1-line block ×4, first 2 shown]
	v_lshrrev_b32_e32 v25, 16, v32
	v_fmac_f16_e32 v21, v41, v29
	v_fma_f16 v22, v46, v29, -v22
	v_mul_f16_e32 v26, v55, v24
	v_fma_f16 v29, v64, v30, -v23
	v_mul_f16_e32 v23, v49, v24
	v_mul_f16_e32 v24, v45, v25
	v_fmac_f16_e32 v54, v51, v30
	v_mul_f16_e32 v30, v52, v25
	v_fmac_f16_e32 v26, v49, v31
	v_fma_f16 v25, v55, v31, -v23
	v_fma_f16 v31, v52, v32, -v24
	v_lshrrev_b32_e32 v24, 16, v35
	v_lshrrev_b32_e32 v41, 16, v33
	;; [unrolled: 1-line block ×3, first 2 shown]
	v_fmac_f16_e32 v30, v45, v32
	v_lshrrev_b32_e32 v32, 16, v36
	v_mul_f16_e32 v49, v70, v24
	v_mul_f16_e32 v24, v58, v24
	;; [unrolled: 1-line block ×6, first 2 shown]
	v_fmac_f16_e32 v49, v58, v35
	v_fma_f16 v24, v70, v35, -v24
	v_add_f16_e32 v35, v42, v62
	v_fmac_f16_e32 v27, v63, v33
	v_fma_f16 v23, v75, v33, -v41
	v_fmac_f16_e32 v45, v60, v34
	v_fma_f16 v33, v72, v34, -v46
	v_lshrrev_b32_e32 v34, 16, v38
	v_mul_f16_e32 v41, v67, v32
	v_mul_f16_e32 v32, v56, v32
	v_add_f16_e32 v51, v20, v81
	v_fma_f16 v35, -0.5, v35, v20
	v_sub_f16_e32 v52, v39, v28
	v_add_f16_e32 v58, v81, v65
	v_mul_f16_e32 v46, v76, v34
	v_fmac_f16_e32 v41, v56, v36
	v_fma_f16 v32, v67, v36, -v32
	v_add_f16_e32 v36, v51, v42
	v_fmamk_f16 v51, v52, 0xbb9c, v35
	v_sub_f16_e32 v55, v48, v61
	v_sub_f16_e32 v56, v81, v42
	;; [unrolled: 1-line block ×3, first 2 shown]
	v_mul_f16_e32 v34, v68, v34
	v_fmac_f16_e32 v20, -0.5, v58
	v_fmac_f16_e32 v35, 0x3b9c, v52
	v_add_f16_e32 v60, v44, v39
	v_fmac_f16_e32 v46, v68, v38
	v_fmac_f16_e32 v51, 0xb8b4, v55
	v_add_f16_e32 v56, v56, v57
	v_fma_f16 v34, v76, v38, -v34
	v_fmamk_f16 v38, v55, 0x3b9c, v20
	v_sub_f16_e32 v57, v42, v81
	v_sub_f16_e32 v58, v62, v65
	v_fmac_f16_e32 v35, 0x38b4, v55
	v_add_f16_e32 v63, v48, v61
	v_fmac_f16_e32 v20, 0xbb9c, v55
	v_add_f16_e32 v55, v60, v48
	v_fmac_f16_e32 v51, 0x34f2, v56
	v_fmac_f16_e32 v38, 0xb8b4, v52
	v_add_f16_e32 v57, v57, v58
	v_fma_f16 v58, -0.5, v63, v44
	v_sub_f16_e32 v60, v81, v65
	v_fmac_f16_e32 v35, 0x34f2, v56
	v_fmac_f16_e32 v20, 0x38b4, v52
	v_add_f16_e32 v52, v55, v61
	v_add_f16_e32 v56, v39, v28
	;; [unrolled: 1-line block ×3, first 2 shown]
	v_fmamk_f16 v55, v60, 0x3b9c, v58
	v_sub_f16_e32 v42, v42, v62
	v_sub_f16_e32 v62, v39, v48
	;; [unrolled: 1-line block ×3, first 2 shown]
	v_fmac_f16_e32 v44, -0.5, v56
	v_add_f16_e32 v52, v52, v28
	v_fmac_f16_e32 v58, 0xbb9c, v60
	v_sub_f16_e32 v39, v48, v39
	v_sub_f16_e32 v28, v61, v28
	v_add_f16_e32 v48, v78, v73
	v_fmac_f16_e32 v38, 0x34f2, v57
	v_fmac_f16_e32 v20, 0x34f2, v57
	;; [unrolled: 1-line block ×3, first 2 shown]
	v_add_f16_e32 v56, v62, v63
	v_fmamk_f16 v57, v42, 0xbb9c, v44
	v_fmac_f16_e32 v58, 0xb8b4, v42
	v_add_f16_e32 v28, v39, v28
	v_fmac_f16_e32 v44, 0x3b9c, v42
	v_add_f16_e32 v39, v48, v53
	v_add_f16_e32 v42, v53, v47
	v_fmac_f16_e32 v55, 0x34f2, v56
	v_fmac_f16_e32 v57, 0x38b4, v60
	;; [unrolled: 1-line block ×4, first 2 shown]
	v_add_f16_e32 v39, v39, v47
	v_fma_f16 v42, -0.5, v42, v78
	v_add_f16_e32 v48, v73, v71
	v_sub_f16_e32 v56, v50, v37
	v_fmac_f16_e32 v57, 0x34f2, v28
	v_fmac_f16_e32 v44, 0x34f2, v28
	v_add_f16_e32 v28, v39, v71
	v_sub_f16_e32 v39, v43, v59
	v_fmac_f16_e32 v78, -0.5, v48
	v_fmamk_f16 v48, v56, 0xbb9c, v42
	v_sub_f16_e32 v60, v73, v53
	v_sub_f16_e32 v61, v71, v47
	v_fmac_f16_e32 v42, 0x3b9c, v56
	v_fmamk_f16 v62, v39, 0x3b9c, v78
	v_sub_f16_e32 v63, v53, v73
	v_sub_f16_e32 v64, v47, v71
	v_fmac_f16_e32 v48, 0xb8b4, v39
	v_add_f16_e32 v60, v60, v61
	v_fmac_f16_e32 v42, 0x38b4, v39
	v_fmac_f16_e32 v78, 0xbb9c, v39
	v_add_f16_e32 v39, v43, v59
	v_fmac_f16_e32 v62, 0xb8b4, v56
	v_add_f16_e32 v61, v63, v64
	v_fmac_f16_e32 v48, 0x34f2, v60
	v_fmac_f16_e32 v42, 0x34f2, v60
	v_fmac_f16_e32 v78, 0x38b4, v56
	v_add_f16_e32 v56, v50, v37
	v_fma_f16 v39, -0.5, v39, v40
	v_sub_f16_e32 v60, v73, v71
	v_fmac_f16_e32 v62, 0x34f2, v61
	v_add_f16_e32 v63, v40, v50
	v_sub_f16_e32 v47, v53, v47
	v_fmac_f16_e32 v40, -0.5, v56
	v_fmac_f16_e32 v78, 0x34f2, v61
	v_fmamk_f16 v53, v60, 0x3b9c, v39
	v_sub_f16_e32 v56, v50, v43
	v_sub_f16_e32 v61, v37, v59
	v_add_f16_e32 v36, v36, v65
	v_fmamk_f16 v64, v47, 0xbb9c, v40
	v_sub_f16_e32 v50, v43, v50
	v_sub_f16_e32 v65, v59, v37
	v_fmac_f16_e32 v53, 0x38b4, v47
	v_add_f16_e32 v56, v56, v61
	v_fmac_f16_e32 v39, 0xbb9c, v60
	v_fmac_f16_e32 v40, 0x3b9c, v47
	;; [unrolled: 1-line block ×3, first 2 shown]
	v_add_f16_e32 v50, v50, v65
	v_add_f16_e32 v43, v63, v43
	v_fmac_f16_e32 v53, 0x34f2, v56
	v_fmac_f16_e32 v39, 0xb8b4, v47
	;; [unrolled: 1-line block ×4, first 2 shown]
	v_add_f16_e32 v43, v43, v59
	v_mul_f16_e32 v47, 0xb8b4, v53
	v_fmac_f16_e32 v39, 0x34f2, v56
	v_fmac_f16_e32 v40, 0x34f2, v50
	v_mul_f16_e32 v50, 0xbb9c, v64
	v_add_f16_e32 v37, v43, v37
	v_fmac_f16_e32 v47, 0x3a79, v48
	v_mul_f16_e32 v43, 0xb8b4, v39
	v_mul_f16_e32 v64, 0x34f2, v64
	;; [unrolled: 1-line block ×3, first 2 shown]
	v_fmac_f16_e32 v50, 0x34f2, v62
	v_add_f16_e32 v56, v36, v28
	v_add_f16_e32 v60, v51, v47
	v_fmac_f16_e32 v43, 0xba79, v42
	v_mul_f16_e32 v53, 0x3a79, v53
	v_mul_f16_e32 v39, 0xba79, v39
	v_fmac_f16_e32 v64, 0x3b9c, v62
	v_sub_f16_e32 v28, v36, v28
	v_sub_f16_e32 v36, v51, v47
	v_add_f16_e32 v47, v30, v45
	v_fmac_f16_e32 v59, 0xb4f2, v78
	v_add_f16_e32 v61, v38, v50
	v_mul_f16_e32 v40, 0xb4f2, v40
	v_add_f16_e32 v65, v35, v43
	v_fmac_f16_e32 v53, 0x38b4, v48
	v_fmac_f16_e32 v39, 0x38b4, v42
	v_add_f16_e32 v42, v52, v37
	v_add_f16_e32 v62, v57, v64
	v_sub_f16_e32 v38, v38, v50
	v_sub_f16_e32 v35, v35, v43
	v_add_f16_e32 v43, v16, v54
	v_fma_f16 v47, -0.5, v47, v16
	v_sub_f16_e32 v50, v29, v32
	v_sub_f16_e32 v37, v52, v37
	;; [unrolled: 1-line block ×3, first 2 shown]
	v_add_f16_e32 v64, v54, v41
	v_add_f16_e32 v63, v20, v59
	v_fmac_f16_e32 v40, 0x3b9c, v78
	v_add_f16_e32 v48, v55, v53
	v_sub_f16_e32 v20, v20, v59
	v_sub_f16_e32 v51, v55, v53
	v_add_f16_e32 v43, v43, v30
	v_fmamk_f16 v53, v50, 0xbb9c, v47
	v_sub_f16_e32 v55, v31, v33
	v_sub_f16_e32 v57, v54, v30
	;; [unrolled: 1-line block ×3, first 2 shown]
	v_fmac_f16_e32 v16, -0.5, v64
	v_fmac_f16_e32 v47, 0x3b9c, v50
	v_add_f16_e32 v64, v19, v29
	v_add_f16_e32 v66, v44, v40
	;; [unrolled: 1-line block ×3, first 2 shown]
	v_sub_f16_e32 v40, v44, v40
	v_add_f16_e32 v43, v43, v45
	v_fmac_f16_e32 v53, 0xb8b4, v55
	v_add_f16_e32 v44, v57, v59
	v_sub_f16_e32 v39, v58, v39
	v_fmamk_f16 v57, v55, 0x3b9c, v16
	v_sub_f16_e32 v58, v30, v54
	v_sub_f16_e32 v59, v45, v41
	v_fmac_f16_e32 v47, 0x38b4, v55
	v_add_f16_e32 v68, v31, v33
	v_fmac_f16_e32 v16, 0xbb9c, v55
	v_add_f16_e32 v55, v64, v31
	v_add_f16_e32 v43, v43, v41
	v_fmac_f16_e32 v53, 0x34f2, v44
	v_add_f16_e32 v58, v58, v59
	v_fma_f16 v59, -0.5, v68, v19
	v_sub_f16_e32 v41, v54, v41
	v_fmac_f16_e32 v47, 0x34f2, v44
	v_add_f16_e32 v44, v55, v33
	v_add_f16_e32 v54, v29, v32
	v_fmac_f16_e32 v57, 0xb8b4, v50
	v_fmac_f16_e32 v16, 0x38b4, v50
	v_fmamk_f16 v50, v41, 0x3b9c, v59
	v_sub_f16_e32 v30, v30, v45
	v_sub_f16_e32 v45, v29, v31
	v_sub_f16_e32 v55, v32, v33
	v_fmac_f16_e32 v19, -0.5, v54
	v_add_f16_e32 v44, v44, v32
	v_fmac_f16_e32 v59, 0xbb9c, v41
	v_sub_f16_e32 v29, v31, v29
	v_sub_f16_e32 v31, v33, v32
	v_add_f16_e32 v32, v21, v26
	v_fmac_f16_e32 v50, 0x38b4, v30
	v_fmamk_f16 v54, v30, 0xbb9c, v19
	v_fmac_f16_e32 v59, 0xb8b4, v30
	v_fmac_f16_e32 v19, 0x3b9c, v30
	v_add_f16_e32 v30, v32, v27
	v_add_f16_e32 v29, v29, v31
	v_fmac_f16_e32 v54, 0x38b4, v41
	v_add_f16_e32 v31, v27, v49
	v_fmac_f16_e32 v19, 0xb8b4, v41
	v_add_f16_e32 v30, v30, v49
	v_add_f16_e32 v32, v26, v46
	;; [unrolled: 1-line block ×3, first 2 shown]
	v_fmac_f16_e32 v54, 0x34f2, v29
	v_fma_f16 v31, -0.5, v31, v21
	v_sub_f16_e32 v33, v25, v34
	v_fmac_f16_e32 v19, 0x34f2, v29
	v_add_f16_e32 v29, v30, v46
	v_sub_f16_e32 v30, v23, v24
	v_fmac_f16_e32 v21, -0.5, v32
	v_fmac_f16_e32 v50, 0x34f2, v45
	v_fmac_f16_e32 v59, 0x34f2, v45
	v_fmamk_f16 v32, v33, 0xbb9c, v31
	v_sub_f16_e32 v41, v26, v27
	v_sub_f16_e32 v45, v46, v49
	v_fmac_f16_e32 v31, 0x3b9c, v33
	v_fmamk_f16 v55, v30, 0x3b9c, v21
	v_fmac_f16_e32 v21, 0xbb9c, v30
	v_fmac_f16_e32 v57, 0x34f2, v58
	;; [unrolled: 1-line block ×3, first 2 shown]
	v_sub_f16_e32 v58, v27, v26
	v_sub_f16_e32 v64, v49, v46
	v_fmac_f16_e32 v32, 0xb8b4, v30
	v_add_f16_e32 v41, v41, v45
	v_fmac_f16_e32 v31, 0x38b4, v30
	v_fmac_f16_e32 v55, 0xb8b4, v33
	v_add_f16_e32 v30, v23, v24
	v_fmac_f16_e32 v21, 0x38b4, v33
	v_add_f16_e32 v33, v25, v34
	v_add_f16_e32 v45, v58, v64
	v_fmac_f16_e32 v32, 0x34f2, v41
	v_fmac_f16_e32 v31, 0x34f2, v41
	v_fma_f16 v30, -0.5, v30, v22
	v_sub_f16_e32 v26, v26, v46
	v_add_f16_e32 v41, v22, v25
	v_sub_f16_e32 v27, v27, v49
	v_fmac_f16_e32 v22, -0.5, v33
	v_fmac_f16_e32 v55, 0x34f2, v45
	v_fmac_f16_e32 v21, 0x34f2, v45
	v_fmamk_f16 v33, v26, 0x3b9c, v30
	v_sub_f16_e32 v45, v25, v23
	v_sub_f16_e32 v46, v34, v24
	v_fmamk_f16 v49, v27, 0xbb9c, v22
	v_sub_f16_e32 v25, v23, v25
	v_sub_f16_e32 v58, v24, v34
	v_fmac_f16_e32 v22, 0x3b9c, v27
	v_fmac_f16_e32 v30, 0xbb9c, v26
	;; [unrolled: 1-line block ×3, first 2 shown]
	v_add_f16_e32 v45, v45, v46
	v_fmac_f16_e32 v49, 0x38b4, v26
	v_add_f16_e32 v25, v25, v58
	v_fmac_f16_e32 v22, 0xb8b4, v26
	;; [unrolled: 2-line block ×3, first 2 shown]
	v_fmac_f16_e32 v33, 0x34f2, v45
	v_fmac_f16_e32 v49, 0x34f2, v25
	;; [unrolled: 1-line block ×3, first 2 shown]
	v_add_f16_e32 v23, v23, v24
	v_fmac_f16_e32 v30, 0x34f2, v45
	v_mul_f16_e32 v24, 0xb8b4, v33
	v_mul_f16_e32 v25, 0xbb9c, v49
	;; [unrolled: 1-line block ×3, first 2 shown]
	v_add_f16_e32 v23, v23, v34
	v_mul_f16_e32 v49, 0x34f2, v49
	v_mul_f16_e32 v22, 0xb4f2, v22
	v_mul_f16_e32 v27, 0xb8b4, v30
	v_fmac_f16_e32 v24, 0x3a79, v32
	v_fmac_f16_e32 v25, 0x34f2, v55
	;; [unrolled: 1-line block ×3, first 2 shown]
	v_add_f16_e32 v34, v43, v29
	v_mul_f16_e32 v33, 0x3a79, v33
	v_mul_f16_e32 v30, 0xba79, v30
	v_fmac_f16_e32 v49, 0x3b9c, v55
	v_fmac_f16_e32 v22, 0x3b9c, v21
	v_add_f16_e32 v55, v44, v23
	v_sub_f16_e32 v21, v43, v29
	v_sub_f16_e32 v43, v44, v23
	v_cndmask_b32_e64 v23, 0, 0x7d0, s0
	v_fmac_f16_e32 v27, 0xba79, v31
	v_add_f16_e32 v41, v53, v24
	v_fmac_f16_e32 v33, 0x38b4, v32
	v_fmac_f16_e32 v30, 0x38b4, v31
	v_sub_f16_e32 v24, v53, v24
	v_add3_u32 v53, 0, v23, v17
	v_add_f16_e32 v45, v57, v25
	v_add_f16_e32 v46, v16, v26
	v_sub_f16_e32 v25, v57, v25
	v_sub_f16_e32 v16, v16, v26
	;; [unrolled: 1-line block ×3, first 2 shown]
	v_add_f16_e32 v58, v47, v27
	v_add_f16_e32 v64, v50, v33
	;; [unrolled: 1-line block ×5, first 2 shown]
	v_sub_f16_e32 v44, v50, v33
	v_sub_f16_e32 v47, v54, v49
	;; [unrolled: 1-line block ×4, first 2 shown]
	ds_store_b16 v53, v56
	ds_store_b16 v53, v60 offset:200
	ds_store_b16 v53, v61 offset:400
	ds_store_b16 v53, v63 offset:600
	ds_store_b16 v53, v65 offset:800
	ds_store_b16 v53, v28 offset:1000
	ds_store_b16 v53, v36 offset:1200
	ds_store_b16 v53, v38 offset:1400
	ds_store_b16 v53, v20 offset:1600
	ds_store_b16 v53, v35 offset:1800
	ds_store_b16 v5, v34
	ds_store_b16 v5, v41 offset:200
	ds_store_b16 v5, v45 offset:400
	;; [unrolled: 1-line block ×9, first 2 shown]
	s_waitcnt lgkmcnt(0)
	s_barrier
	buffer_gl0_inv
	ds_load_u16 v19, v0 offset:4400
	ds_load_u16 v16, v14
	v_lshl_add_u32 v35, v11, 1, 0
	ds_load_u16 v28, v0
	ds_load_u16 v31, v0 offset:2000
	ds_load_u16 v17, v0 offset:2400
	;; [unrolled: 1-line block ×6, first 2 shown]
	ds_load_u16 v15, v15
	ds_load_u16 v22, v35
	;; [unrolled: 1-line block ×3, first 2 shown]
	ds_load_u16 v34, v0 offset:4000
	ds_load_u16 v29, v0 offset:3600
	;; [unrolled: 1-line block ×8, first 2 shown]
	s_waitcnt lgkmcnt(0)
	s_barrier
	buffer_gl0_inv
	ds_store_b16 v53, v42
	ds_store_b16 v53, v48 offset:200
	ds_store_b16 v53, v62 offset:400
	;; [unrolled: 1-line block ×9, first 2 shown]
	ds_store_b16 v5, v55
	ds_store_b16 v5, v64 offset:200
	ds_store_b16 v5, v68 offset:400
	;; [unrolled: 1-line block ×9, first 2 shown]
	s_waitcnt lgkmcnt(0)
	s_barrier
	buffer_gl0_inv
	s_and_saveexec_b32 s0, vcc_lo
	s_cbranch_execz .LBB0_15
; %bb.14:
	v_mul_u32_u24_e32 v5, 3, v7
	v_lshlrev_b64 v[1:2], 2, v[1:2]
	s_delay_alu instid0(VALU_DEP_2)
	v_lshlrev_b32_e32 v36, 2, v5
	v_mul_i32_i24_e32 v5, 3, v9
	global_load_b96 v[36:38], v36, s[8:9] offset:3960
	v_lshlrev_b64 v[39:40], 2, v[5:6]
	v_mul_i32_i24_e32 v5, 3, v11
	v_add_nc_u32_e32 v11, 0x190, v7
	s_delay_alu instid0(VALU_DEP_2) | instskip(NEXT) | instid1(VALU_DEP_4)
	v_lshlrev_b64 v[42:43], 2, v[5:6]
	v_add_co_u32 v39, vcc_lo, s8, v39
	v_add_co_ci_u32_e32 v40, vcc_lo, s9, v40, vcc_lo
	v_mul_i32_i24_e32 v5, 3, v8
	s_delay_alu instid0(VALU_DEP_4)
	v_add_co_u32 v42, vcc_lo, s8, v42
	global_load_b96 v[39:41], v[39:40], off offset:3960
	v_add_co_ci_u32_e32 v43, vcc_lo, s9, v43, vcc_lo
	v_lshlrev_b64 v[8:9], 2, v[5:6]
	v_mul_i32_i24_e32 v5, 3, v10
	global_load_b96 v[42:44], v[42:43], off offset:3960
	v_lshlrev_b64 v[5:6], 2, v[5:6]
	v_add_co_u32 v8, vcc_lo, s8, v8
	v_add_co_ci_u32_e32 v9, vcc_lo, s9, v9, vcc_lo
	s_delay_alu instid0(VALU_DEP_3)
	v_add_co_u32 v5, vcc_lo, s8, v5
	global_load_b96 v[45:47], v[8:9], off offset:3960
	v_add_co_ci_u32_e32 v6, vcc_lo, s9, v6, vcc_lo
	v_mul_lo_u32 v8, s3, v3
	v_mul_lo_u32 v9, s2, v4
	global_load_b96 v[48:50], v[5:6], off offset:3960
	v_mul_i32_i24_e32 v6, 0xffffffee, v10
	v_add_nc_u32_e32 v10, 0xc8, v7
	v_mad_u64_u32 v[4:5], null, s2, v3, 0
	ds_load_u16 v72, v35
	ds_load_u16 v73, v0 offset:7600
	ds_load_u16 v74, v0 offset:7200
	;; [unrolled: 1-line block ×8, first 2 shown]
	v_mul_hi_u32 v3, 0x10624dd3, v7
	ds_load_u16 v81, v13
	ds_load_u16 v82, v14
	v_mul_hi_u32 v13, 0x10624dd3, v10
	v_add_nc_u32_e32 v85, v12, v6
	v_add_nc_u32_e32 v35, 0x258, v7
	v_add3_u32 v5, v5, v9, v8
	v_mul_hi_u32 v14, 0x10624dd3, v11
	ds_load_u16 v83, v0 offset:4400
	ds_load_u16 v84, v0 offset:4000
	v_lshrrev_b32_e32 v3, 6, v3
	v_mul_hi_u32 v51, 0x10624dd3, v35
	v_lshrrev_b32_e32 v12, 6, v13
	s_delay_alu instid0(VALU_DEP_3) | instskip(SKIP_1) | instid1(VALU_DEP_3)
	v_mul_u32_u24_e32 v6, 0x3e8, v3
	v_lshlrev_b64 v[3:4], 2, v[4:5]
	v_mul_u32_u24_e32 v5, 0x3e8, v12
	v_lshrrev_b32_e32 v13, 6, v14
	v_lshrrev_b32_e32 v14, 6, v51
	v_sub_nc_u32_e32 v53, v7, v6
	s_delay_alu instid0(VALU_DEP_4) | instskip(NEXT) | instid1(VALU_DEP_4)
	v_sub_nc_u32_e32 v10, v10, v5
	v_mul_u32_u24_e32 v6, 0x3e8, v13
	s_delay_alu instid0(VALU_DEP_4) | instskip(SKIP_1) | instid1(VALU_DEP_4)
	v_mul_u32_u24_e32 v8, 0x3e8, v14
	v_add_co_u32 v9, vcc_lo, s6, v3
	v_mad_u32_u24 v67, 0xfa0, v12, v10
	v_add_nc_u32_e32 v63, 0x7d0, v53
	s_delay_alu instid0(VALU_DEP_4) | instskip(SKIP_1) | instid1(VALU_DEP_4)
	v_sub_nc_u32_e32 v35, v35, v8
	v_add_co_ci_u32_e32 v51, vcc_lo, s7, v4, vcc_lo
	v_add_nc_u32_e32 v71, 0xbb8, v67
	v_mad_u64_u32 v[3:4], null, s12, v53, 0
	v_sub_nc_u32_e32 v11, v11, v6
	v_add_co_u32 v86, vcc_lo, v9, v1
	s_delay_alu instid0(VALU_DEP_4)
	v_mad_u64_u32 v[56:57], null, s12, v71, 0
	v_add_nc_u32_e32 v66, 0xbb8, v53
	v_mad_u64_u32 v[5:6], null, s12, v63, 0
	v_mad_u32_u24 v88, 0xfa0, v14, v35
	v_add_co_ci_u32_e32 v87, vcc_lo, v51, v2, vcc_lo
	v_mov_b32_e32 v35, v57
	v_mad_u64_u32 v[8:9], null, s12, v66, 0
	v_mad_u64_u32 v[51:52], null, s13, v53, v[4:5]
	v_mov_b32_e32 v4, v6
	v_mad_u32_u24 v69, 0xfa0, v13, v11
	v_mad_u64_u32 v[10:11], null, s12, v67, 0
	v_mov_b32_e32 v6, v9
	s_delay_alu instid0(VALU_DEP_3) | instskip(NEXT) | instid1(VALU_DEP_2)
	v_mad_u64_u32 v[12:13], null, s12, v69, 0
	v_mad_u64_u32 v[64:65], null, s13, v66, v[6:7]
	s_delay_alu instid0(VALU_DEP_1) | instskip(NEXT) | instid1(VALU_DEP_1)
	v_dual_mov_b32 v9, v64 :: v_dual_add_nc_u32 v62, 0x3e8, v53
	v_mad_u64_u32 v[1:2], null, s12, v62, 0
	s_delay_alu instid0(VALU_DEP_2) | instskip(NEXT) | instid1(VALU_DEP_2)
	v_lshlrev_b64 v[8:9], 2, v[8:9]
	v_mad_u64_u32 v[60:61], null, s13, v62, v[2:3]
	v_mad_u64_u32 v[61:62], null, s13, v63, v[4:5]
	v_dual_mov_b32 v2, v11 :: v_dual_add_nc_u32 v89, 0x3e8, v69
	v_dual_mov_b32 v11, v13 :: v_dual_mov_b32 v4, v51
	s_delay_alu instid0(VALU_DEP_2) | instskip(NEXT) | instid1(VALU_DEP_4)
	v_mad_u64_u32 v[65:66], null, s13, v67, v[2:3]
	v_mov_b32_e32 v6, v61
	v_add_nc_u32_e32 v90, 0x7d0, v69
	v_mad_u64_u32 v[58:59], null, s12, v89, 0
	v_add_nc_u32_e32 v68, 0x3e8, v67
	v_mov_b32_e32 v2, v60
	s_delay_alu instid0(VALU_DEP_4) | instskip(SKIP_4) | instid1(VALU_DEP_4)
	v_mad_u64_u32 v[62:63], null, s12, v90, 0
	v_add_nc_u32_e32 v70, 0x7d0, v67
	v_mad_u64_u32 v[60:61], null, s13, v69, v[11:12]
	v_mov_b32_e32 v11, v59
	v_mad_u64_u32 v[52:53], null, s12, v68, 0
	v_mad_u64_u32 v[54:55], null, s12, v70, 0
	v_lshlrev_b64 v[3:4], 2, v[3:4]
	v_lshlrev_b64 v[5:6], 2, v[5:6]
	s_delay_alu instid0(VALU_DEP_3) | instskip(NEXT) | instid1(VALU_DEP_3)
	v_dual_mov_b32 v13, v53 :: v_dual_mov_b32 v14, v55
	v_add_co_u32 v3, vcc_lo, v86, v3
	s_delay_alu instid0(VALU_DEP_4) | instskip(NEXT) | instid1(VALU_DEP_3)
	v_add_co_ci_u32_e32 v4, vcc_lo, v87, v4, vcc_lo
	v_mad_u64_u32 v[66:67], null, s13, v68, v[13:14]
	v_mov_b32_e32 v13, v63
	v_mad_u64_u32 v[67:68], null, s13, v70, v[14:15]
	s_delay_alu instid0(VALU_DEP_3) | instskip(NEXT) | instid1(VALU_DEP_1)
	v_dual_mov_b32 v53, v66 :: v_dual_add_nc_u32 v14, 0xbb8, v69
	v_lshlrev_b64 v[51:52], 2, v[52:53]
	s_waitcnt vmcnt(4)
	v_mad_u64_u32 v[68:69], null, s13, v71, v[35:36]
	v_mad_u64_u32 v[69:70], null, s13, v89, v[11:12]
	v_mov_b32_e32 v11, v65
	v_mad_u64_u32 v[64:65], null, s12, v14, 0
	v_mad_u64_u32 v[70:71], null, s13, v90, v[13:14]
	ds_load_u16 v35, v0 offset:3600
	ds_load_u16 v71, v0 offset:3200
	;; [unrolled: 1-line block ×5, first 2 shown]
	ds_load_u16 v92, v0
	ds_load_u16 v85, v85
	v_mov_b32_e32 v55, v67
	v_mov_b32_e32 v13, v60
	v_mad_u64_u32 v[60:61], null, s12, v88, 0
	v_dual_mov_b32 v0, v65 :: v_dual_mov_b32 v57, v68
	v_mov_b32_e32 v59, v69
	v_lshrrev_b32_e32 v67, 16, v38
	v_lshlrev_b64 v[53:54], 2, v[54:55]
	s_delay_alu instid0(VALU_DEP_4)
	v_mad_u64_u32 v[65:66], null, s13, v14, v[0:1]
	v_lshlrev_b64 v[0:1], 2, v[1:2]
	v_lshrrev_b32_e32 v2, 16, v36
	v_lshrrev_b32_e32 v14, 16, v37
	v_mul_f16_e32 v66, v34, v37
	v_lshlrev_b64 v[55:56], 2, v[56:57]
	v_lshlrev_b64 v[57:58], 2, v[58:59]
	v_mul_f16_e32 v59, v31, v2
	s_waitcnt lgkmcnt(2)
	v_mul_f16_e32 v2, v91, v2
	v_fmac_f16_e32 v66, v84, v14
	v_mul_f16_e32 v14, v34, v14
	v_mul_f16_e32 v34, v33, v67
	v_mul_f16_e32 v67, v77, v67
	s_waitcnt vmcnt(3)
	v_lshrrev_b32_e32 v68, 16, v39
	v_lshrrev_b32_e32 v69, 16, v40
	v_fma_f16 v14, v84, v37, -v14
	v_mul_f16_e32 v37, v32, v40
	v_fmac_f16_e32 v2, v31, v36
	v_lshrrev_b32_e32 v31, 16, v41
	v_fmac_f16_e32 v67, v33, v38
	v_mul_f16_e32 v33, v29, v68
	v_mov_b32_e32 v63, v70
	v_fma_f16 v59, v91, v36, -v59
	v_fma_f16 v34, v77, v38, -v34
	v_sub_f16_e32 v36, v28, v66
	v_fmac_f16_e32 v37, v78, v69
	v_mul_f16_e32 v38, v30, v31
	v_mul_f16_e32 v32, v32, v69
	v_mul_f16_e32 v66, v35, v68
	v_mul_f16_e32 v31, v73, v31
	s_waitcnt vmcnt(2)
	v_lshrrev_b32_e32 v68, 16, v42
	v_lshrrev_b32_e32 v69, 16, v43
	v_lshrrev_b32_e32 v70, 16, v44
	v_fma_f16 v33, v35, v39, -v33
	v_mul_f16_e32 v35, v27, v43
	v_sub_f16_e32 v34, v59, v34
	s_waitcnt lgkmcnt(1)
	v_sub_f16_e32 v14, v92, v14
	v_sub_f16_e32 v67, v2, v67
	v_fma_f16 v38, v73, v41, -v38
	v_fma_f16 v32, v78, v40, -v32
	v_fmac_f16_e32 v66, v29, v39
	v_fmac_f16_e32 v31, v30, v41
	;; [unrolled: 1-line block ×3, first 2 shown]
	v_mul_f16_e32 v29, v24, v68
	v_mul_f16_e32 v30, v25, v70
	v_mul_f16_e32 v27, v27, v69
	v_mul_f16_e32 v39, v71, v68
	v_mul_f16_e32 v40, v74, v70
	s_waitcnt vmcnt(1)
	v_lshrrev_b32_e32 v41, 16, v45
	v_lshrrev_b32_e32 v68, 16, v46
	;; [unrolled: 1-line block ×3, first 2 shown]
	v_mul_f16_e32 v70, v23, v46
	v_fma_f16 v28, v28, 2.0, -v36
	v_sub_f16_e32 v37, v26, v37
	v_add_f16_e32 v73, v36, v34
	v_sub_f16_e32 v77, v14, v67
	v_fma_f16 v2, v2, 2.0, -v67
	v_fma_f16 v67, v92, 2.0, -v14
	v_fma_f16 v34, v59, 2.0, -v34
	v_sub_f16_e32 v38, v33, v38
	v_fma_f16 v29, v71, v42, -v29
	v_fma_f16 v30, v74, v44, -v30
	;; [unrolled: 1-line block ×3, first 2 shown]
	v_fmac_f16_e32 v39, v24, v42
	v_fmac_f16_e32 v40, v25, v44
	;; [unrolled: 1-line block ×3, first 2 shown]
	v_mul_f16_e32 v24, v20, v41
	v_mul_f16_e32 v25, v21, v69
	;; [unrolled: 1-line block ×5, first 2 shown]
	s_waitcnt vmcnt(0)
	v_lshrrev_b32_e32 v43, 16, v48
	v_lshrrev_b32_e32 v44, 16, v49
	;; [unrolled: 1-line block ×3, first 2 shown]
	v_mul_f16_e32 v68, v19, v49
	v_sub_f16_e32 v35, v22, v35
	v_fma_f16 v36, v36, 2.0, -v73
	v_fma_f16 v14, v14, 2.0, -v77
	v_sub_f16_e32 v2, v28, v2
	v_sub_f16_e32 v34, v67, v34
	v_add_f16_e32 v71, v37, v38
	v_fma_f16 v33, v33, 2.0, -v38
	v_sub_f16_e32 v30, v29, v30
	v_sub_f16_e32 v27, v72, v27
	;; [unrolled: 1-line block ×3, first 2 shown]
	v_fma_f16 v24, v89, v45, -v24
	v_fma_f16 v25, v75, v47, -v25
	v_fmac_f16_e32 v41, v20, v45
	v_fmac_f16_e32 v42, v21, v47
	;; [unrolled: 1-line block ×3, first 2 shown]
	v_mul_f16_e32 v20, v17, v43
	v_mul_f16_e32 v21, v18, v59
	;; [unrolled: 1-line block ×5, first 2 shown]
	v_add_co_u32 v0, vcc_lo, v86, v0
	v_fma_f16 v26, v26, 2.0, -v37
	v_fma_f16 v22, v22, 2.0, -v35
	v_sub_f16_e32 v40, v16, v70
	v_fma_f16 v28, v28, 2.0, -v2
	v_fma_f16 v45, v67, 2.0, -v34
	v_pack_b32_f16 v14, v36, v14
	v_pack_b32_f16 v2, v2, v34
	v_fma_f16 v34, v37, 2.0, -v71
	v_add_f16_e32 v36, v35, v30
	v_sub_f16_e32 v37, v27, v38
	v_fma_f16 v38, v39, 2.0, -v38
	v_sub_f16_e32 v25, v24, v25
	v_fma_f16 v20, v90, v48, -v20
	v_fma_f16 v21, v76, v50, -v21
	;; [unrolled: 1-line block ×3, first 2 shown]
	v_fmac_f16_e32 v43, v17, v48
	v_fmac_f16_e32 v44, v18, v50
	v_add_co_ci_u32_e32 v1, vcc_lo, v87, v1, vcc_lo
	v_add_co_u32 v5, vcc_lo, v86, v5
	v_fma_f16 v23, v80, v46, -v23
	v_add_co_ci_u32_e32 v6, vcc_lo, v87, v6, vcc_lo
	v_fma_f16 v29, v29, 2.0, -v30
	v_sub_f16_e32 v30, v41, v42
	v_sub_f16_e32 v42, v15, v68
	v_pack_b32_f16 v17, v28, v45
	v_fma_f16 v28, v35, 2.0, -v36
	v_sub_f16_e32 v35, v22, v38
	v_add_f16_e32 v38, v40, v25
	v_fma_f16 v24, v24, 2.0, -v25
	v_sub_f16_e32 v21, v20, v21
	s_waitcnt lgkmcnt(0)
	v_sub_f16_e32 v19, v85, v19
	v_sub_f16_e32 v25, v43, v44
	v_add_co_u32 v8, vcc_lo, v86, v8
	v_lshlrev_b64 v[10:11], 2, v[10:11]
	v_add_co_ci_u32_e32 v9, vcc_lo, v87, v9, vcc_lo
	v_pack_b32_f16 v69, v73, v77
	v_sub_f16_e32 v23, v82, v23
	v_fma_f16 v15, v15, 2.0, -v42
	s_clause 0x3
	global_store_b32 v[3:4], v17, off
	global_store_b32 v[0:1], v14, off
	;; [unrolled: 1-line block ×4, first 2 shown]
	v_fma_f16 v0, v43, 2.0, -v25
	v_fma_f16 v1, v85, 2.0, -v19
	;; [unrolled: 1-line block ×3, first 2 shown]
	v_lshlrev_b64 v[12:13], 2, v[12:13]
	v_add_co_u32 v10, vcc_lo, v86, v10
	v_fma_f16 v16, v16, 2.0, -v40
	v_sub_f16_e32 v45, v23, v30
	v_fma_f16 v30, v41, 2.0, -v30
	v_fma_f16 v41, v82, 2.0, -v23
	v_sub_f16_e32 v0, v15, v0
	v_sub_f16_e32 v2, v1, v2
	v_add_co_ci_u32_e32 v11, vcc_lo, v87, v11, vcc_lo
	v_add_f16_e32 v4, v42, v21
	v_sub_f16_e32 v5, v19, v25
	v_add_co_u32 v12, vcc_lo, v86, v12
	v_add_co_ci_u32_e32 v13, vcc_lo, v87, v13, vcc_lo
	v_sub_f16_e32 v8, v16, v30
	v_sub_f16_e32 v9, v41, v24
	v_add_co_u32 v51, vcc_lo, v86, v51
	v_fma_f16 v15, v15, 2.0, -v0
	v_fma_f16 v1, v1, 2.0, -v2
	v_fma_f16 v6, v42, 2.0, -v4
	v_fma_f16 v19, v19, 2.0, -v5
	v_add_co_ci_u32_e32 v52, vcc_lo, v87, v52, vcc_lo
	v_add_co_u32 v53, vcc_lo, v86, v53
	v_fma_f16 v16, v16, 2.0, -v8
	v_fma_f16 v21, v41, 2.0, -v9
	v_add_co_ci_u32_e32 v54, vcc_lo, v87, v54, vcc_lo
	v_pack_b32_f16 v1, v15, v1
	v_add_co_u32 v55, vcc_lo, v86, v55
	v_pack_b32_f16 v6, v6, v19
	v_fma_f16 v3, v40, 2.0, -v38
	v_fma_f16 v20, v23, 2.0, -v45
	v_pack_b32_f16 v0, v0, v2
	v_add_co_ci_u32_e32 v56, vcc_lo, v87, v56, vcc_lo
	v_pack_b32_f16 v2, v4, v5
	v_pack_b32_f16 v4, v16, v21
	s_clause 0x4
	global_store_b32 v[10:11], v1, off
	global_store_b32 v[51:52], v6, off
	;; [unrolled: 1-line block ×5, first 2 shown]
	v_add_nc_u32_e32 v13, 0x3e8, v88
	v_pack_b32_f16 v12, v3, v20
	v_lshlrev_b64 v[2:3], 2, v[62:63]
	v_add_co_u32 v0, vcc_lo, v86, v57
	s_delay_alu instid0(VALU_DEP_4)
	v_mad_u64_u32 v[5:6], null, s12, v13, 0
	v_add_co_ci_u32_e32 v1, vcc_lo, v87, v58, vcc_lo
	v_mov_b32_e32 v4, v61
	v_add_co_u32 v2, vcc_lo, v86, v2
	v_pack_b32_f16 v15, v8, v9
	v_lshlrev_b64 v[8:9], 2, v[64:65]
	v_add_co_ci_u32_e32 v3, vcc_lo, v87, v3, vcc_lo
	v_mad_u64_u32 v[10:11], null, s13, v88, v[4:5]
	s_clause 0x1
	global_store_b32 v[0:1], v12, off
	global_store_b32 v[2:3], v15, off
	v_mov_b32_e32 v0, v6
	v_add_co_u32 v1, vcc_lo, v86, v8
	v_add_nc_u32_e32 v12, 0x320, v7
	v_add_nc_u32_e32 v11, 0x7d0, v88
	v_mov_b32_e32 v61, v10
	s_delay_alu instid0(VALU_DEP_4) | instskip(NEXT) | instid1(VALU_DEP_4)
	v_mad_u64_u32 v[3:4], null, s13, v13, v[0:1]
	v_mul_hi_u32 v4, 0x10624dd3, v12
	v_add_co_ci_u32_e32 v2, vcc_lo, v87, v9, vcc_lo
	v_mad_u64_u32 v[9:10], null, s12, v11, 0
	v_lshlrev_b64 v[7:8], 2, v[60:61]
	v_pack_b32_f16 v0, v38, v45
	v_mov_b32_e32 v6, v3
	v_fma_f16 v39, v72, 2.0, -v27
	v_fma_f16 v27, v27, 2.0, -v37
	;; [unrolled: 1-line block ×3, first 2 shown]
	global_store_b32 v[1:2], v0, off
	v_add_co_u32 v0, vcc_lo, v86, v7
	v_lshrrev_b32_e32 v7, 6, v4
	v_lshlrev_b64 v[3:4], 2, v[5:6]
	v_mov_b32_e32 v2, v10
	v_sub_f16_e32 v29, v39, v29
	v_add_co_ci_u32_e32 v1, vcc_lo, v87, v8, vcc_lo
	v_sub_f16_e32 v32, v81, v32
	s_delay_alu instid0(VALU_DEP_4)
	v_mad_u64_u32 v[5:6], null, s13, v11, v[2:3]
	v_mul_u32_u24_e32 v6, 0x3e8, v7
	v_fma_f16 v17, v39, 2.0, -v29
	v_add_co_u32 v2, vcc_lo, v86, v3
	v_add_co_ci_u32_e32 v3, vcc_lo, v87, v4, vcc_lo
	v_mov_b32_e32 v10, v5
	v_sub_nc_u32_e32 v6, v12, v6
	v_pack_b32_f16 v8, v14, v17
	v_pack_b32_f16 v4, v28, v27
	v_add_nc_u32_e32 v11, 0xbb8, v88
	v_pack_b32_f16 v14, v35, v29
	v_mad_u32_u24 v12, 0xfa0, v7, v6
	s_clause 0x1
	global_store_b32 v[0:1], v8, off
	global_store_b32 v[2:3], v4, off
	v_mad_u64_u32 v[2:3], null, s12, v11, 0
	v_add_nc_u32_e32 v13, 0x3e8, v12
	v_mad_u64_u32 v[4:5], null, s12, v12, 0
	v_lshlrev_b64 v[0:1], 2, v[9:10]
	v_add_nc_u32_e32 v15, 0x7d0, v12
	s_delay_alu instid0(VALU_DEP_4)
	v_mad_u64_u32 v[6:7], null, s12, v13, 0
	v_sub_f16_e32 v31, v66, v31
	v_mad_u64_u32 v[8:9], null, s13, v11, v[3:4]
	v_add_co_u32 v0, vcc_lo, v86, v0
	v_add_co_ci_u32_e32 v1, vcc_lo, v87, v1, vcc_lo
	v_mad_u64_u32 v[9:10], null, s13, v12, v[5:6]
	v_mad_u64_u32 v[10:11], null, s12, v15, 0
	v_mov_b32_e32 v5, v7
	v_mov_b32_e32 v3, v8
	global_store_b32 v[0:1], v14, off
	v_add_nc_u32_e32 v14, 0xbb8, v12
	v_sub_f16_e32 v73, v32, v31
	v_fma_f16 v31, v66, 2.0, -v31
	v_lshlrev_b64 v[0:1], 2, v[2:3]
	v_mov_b32_e32 v2, v11
	v_mad_u64_u32 v[7:8], null, s13, v13, v[5:6]
	v_mov_b32_e32 v5, v9
	v_mad_u64_u32 v[8:9], null, s12, v14, 0
	s_delay_alu instid0(VALU_DEP_4) | instskip(NEXT) | instid1(VALU_DEP_3)
	v_mad_u64_u32 v[11:12], null, s13, v15, v[2:3]
	v_lshlrev_b64 v[3:4], 2, v[4:5]
	v_fma_f16 v66, v81, 2.0, -v32
	v_add_co_u32 v0, vcc_lo, v86, v0
	v_mov_b32_e32 v2, v9
	v_lshlrev_b64 v[5:6], 2, v[6:7]
	v_add_co_ci_u32_e32 v1, vcc_lo, v87, v1, vcc_lo
	v_sub_f16_e32 v31, v26, v31
	s_delay_alu instid0(VALU_DEP_4)
	v_mad_u64_u32 v[12:13], null, s13, v14, v[2:3]
	v_sub_f16_e32 v33, v66, v33
	v_add_co_u32 v2, vcc_lo, v86, v3
	v_add_co_ci_u32_e32 v3, vcc_lo, v87, v4, vcc_lo
	v_lshlrev_b64 v[10:11], 2, v[10:11]
	v_mov_b32_e32 v9, v12
	v_add_co_u32 v4, vcc_lo, v86, v5
	v_fma_f16 v18, v26, 2.0, -v31
	v_fma_f16 v26, v66, 2.0, -v33
	v_add_co_ci_u32_e32 v5, vcc_lo, v87, v6, vcc_lo
	v_lshlrev_b64 v[6:7], 2, v[8:9]
	v_fma_f16 v32, v32, 2.0, -v73
	v_add_co_u32 v8, vcc_lo, v86, v10
	v_pack_b32_f16 v15, v36, v37
	v_pack_b32_f16 v13, v18, v26
	v_add_co_ci_u32_e32 v9, vcc_lo, v87, v11, vcc_lo
	v_pack_b32_f16 v12, v34, v32
	v_add_co_u32 v6, vcc_lo, v86, v6
	v_pack_b32_f16 v10, v31, v33
	v_add_co_ci_u32_e32 v7, vcc_lo, v87, v7, vcc_lo
	v_pack_b32_f16 v11, v71, v73
	s_clause 0x4
	global_store_b32 v[0:1], v15, off
	global_store_b32 v[2:3], v13, off
	;; [unrolled: 1-line block ×5, first 2 shown]
.LBB0_15:
	s_nop 0
	s_sendmsg sendmsg(MSG_DEALLOC_VGPRS)
	s_endpgm
	.section	.rodata,"a",@progbits
	.p2align	6, 0x0
	.amdhsa_kernel fft_rtc_back_len4000_factors_10_10_10_4_wgs_200_tpt_200_halfLds_half_op_CI_CI_sbrr_dirReg
		.amdhsa_group_segment_fixed_size 0
		.amdhsa_private_segment_fixed_size 0
		.amdhsa_kernarg_size 104
		.amdhsa_user_sgpr_count 15
		.amdhsa_user_sgpr_dispatch_ptr 0
		.amdhsa_user_sgpr_queue_ptr 0
		.amdhsa_user_sgpr_kernarg_segment_ptr 1
		.amdhsa_user_sgpr_dispatch_id 0
		.amdhsa_user_sgpr_private_segment_size 0
		.amdhsa_wavefront_size32 1
		.amdhsa_uses_dynamic_stack 0
		.amdhsa_enable_private_segment 0
		.amdhsa_system_sgpr_workgroup_id_x 1
		.amdhsa_system_sgpr_workgroup_id_y 0
		.amdhsa_system_sgpr_workgroup_id_z 0
		.amdhsa_system_sgpr_workgroup_info 0
		.amdhsa_system_vgpr_workitem_id 0
		.amdhsa_next_free_vgpr 93
		.amdhsa_next_free_sgpr 31
		.amdhsa_reserve_vcc 1
		.amdhsa_float_round_mode_32 0
		.amdhsa_float_round_mode_16_64 0
		.amdhsa_float_denorm_mode_32 3
		.amdhsa_float_denorm_mode_16_64 3
		.amdhsa_dx10_clamp 1
		.amdhsa_ieee_mode 1
		.amdhsa_fp16_overflow 0
		.amdhsa_workgroup_processor_mode 1
		.amdhsa_memory_ordered 1
		.amdhsa_forward_progress 0
		.amdhsa_shared_vgpr_count 0
		.amdhsa_exception_fp_ieee_invalid_op 0
		.amdhsa_exception_fp_denorm_src 0
		.amdhsa_exception_fp_ieee_div_zero 0
		.amdhsa_exception_fp_ieee_overflow 0
		.amdhsa_exception_fp_ieee_underflow 0
		.amdhsa_exception_fp_ieee_inexact 0
		.amdhsa_exception_int_div_zero 0
	.end_amdhsa_kernel
	.text
.Lfunc_end0:
	.size	fft_rtc_back_len4000_factors_10_10_10_4_wgs_200_tpt_200_halfLds_half_op_CI_CI_sbrr_dirReg, .Lfunc_end0-fft_rtc_back_len4000_factors_10_10_10_4_wgs_200_tpt_200_halfLds_half_op_CI_CI_sbrr_dirReg
                                        ; -- End function
	.section	.AMDGPU.csdata,"",@progbits
; Kernel info:
; codeLenInByte = 14500
; NumSgprs: 33
; NumVgprs: 93
; ScratchSize: 0
; MemoryBound: 0
; FloatMode: 240
; IeeeMode: 1
; LDSByteSize: 0 bytes/workgroup (compile time only)
; SGPRBlocks: 4
; VGPRBlocks: 11
; NumSGPRsForWavesPerEU: 33
; NumVGPRsForWavesPerEU: 93
; Occupancy: 16
; WaveLimiterHint : 1
; COMPUTE_PGM_RSRC2:SCRATCH_EN: 0
; COMPUTE_PGM_RSRC2:USER_SGPR: 15
; COMPUTE_PGM_RSRC2:TRAP_HANDLER: 0
; COMPUTE_PGM_RSRC2:TGID_X_EN: 1
; COMPUTE_PGM_RSRC2:TGID_Y_EN: 0
; COMPUTE_PGM_RSRC2:TGID_Z_EN: 0
; COMPUTE_PGM_RSRC2:TIDIG_COMP_CNT: 0
	.text
	.p2alignl 7, 3214868480
	.fill 96, 4, 3214868480
	.type	__hip_cuid_da7262bfb8800e30,@object ; @__hip_cuid_da7262bfb8800e30
	.section	.bss,"aw",@nobits
	.globl	__hip_cuid_da7262bfb8800e30
__hip_cuid_da7262bfb8800e30:
	.byte	0                               ; 0x0
	.size	__hip_cuid_da7262bfb8800e30, 1

	.ident	"AMD clang version 19.0.0git (https://github.com/RadeonOpenCompute/llvm-project roc-6.4.0 25133 c7fe45cf4b819c5991fe208aaa96edf142730f1d)"
	.section	".note.GNU-stack","",@progbits
	.addrsig
	.addrsig_sym __hip_cuid_da7262bfb8800e30
	.amdgpu_metadata
---
amdhsa.kernels:
  - .args:
      - .actual_access:  read_only
        .address_space:  global
        .offset:         0
        .size:           8
        .value_kind:     global_buffer
      - .offset:         8
        .size:           8
        .value_kind:     by_value
      - .actual_access:  read_only
        .address_space:  global
        .offset:         16
        .size:           8
        .value_kind:     global_buffer
      - .actual_access:  read_only
        .address_space:  global
        .offset:         24
        .size:           8
        .value_kind:     global_buffer
      - .actual_access:  read_only
        .address_space:  global
        .offset:         32
        .size:           8
        .value_kind:     global_buffer
      - .offset:         40
        .size:           8
        .value_kind:     by_value
      - .actual_access:  read_only
        .address_space:  global
        .offset:         48
        .size:           8
        .value_kind:     global_buffer
      - .actual_access:  read_only
        .address_space:  global
        .offset:         56
        .size:           8
        .value_kind:     global_buffer
      - .offset:         64
        .size:           4
        .value_kind:     by_value
      - .actual_access:  read_only
        .address_space:  global
        .offset:         72
        .size:           8
        .value_kind:     global_buffer
      - .actual_access:  read_only
        .address_space:  global
        .offset:         80
        .size:           8
        .value_kind:     global_buffer
      - .actual_access:  read_only
        .address_space:  global
        .offset:         88
        .size:           8
        .value_kind:     global_buffer
      - .actual_access:  write_only
        .address_space:  global
        .offset:         96
        .size:           8
        .value_kind:     global_buffer
    .group_segment_fixed_size: 0
    .kernarg_segment_align: 8
    .kernarg_segment_size: 104
    .language:       OpenCL C
    .language_version:
      - 2
      - 0
    .max_flat_workgroup_size: 200
    .name:           fft_rtc_back_len4000_factors_10_10_10_4_wgs_200_tpt_200_halfLds_half_op_CI_CI_sbrr_dirReg
    .private_segment_fixed_size: 0
    .sgpr_count:     33
    .sgpr_spill_count: 0
    .symbol:         fft_rtc_back_len4000_factors_10_10_10_4_wgs_200_tpt_200_halfLds_half_op_CI_CI_sbrr_dirReg.kd
    .uniform_work_group_size: 1
    .uses_dynamic_stack: false
    .vgpr_count:     93
    .vgpr_spill_count: 0
    .wavefront_size: 32
    .workgroup_processor_mode: 1
amdhsa.target:   amdgcn-amd-amdhsa--gfx1100
amdhsa.version:
  - 1
  - 2
...

	.end_amdgpu_metadata
